;; amdgpu-corpus repo=ROCm/rccl kind=compiled arch=gfx1100 opt=O3
	.text
	.amdgcn_target "amdgcn-amd-amdhsa--gfx1100"
	.amdhsa_code_object_version 6
	.p2align	2                               ; -- Begin function _ZN12_GLOBAL__N_17runRingIh14FuncSumPostDivIhE7ProtoLLLi0ELi1ELi0EEEviiP15ncclDevWorkColl
	.type	_ZN12_GLOBAL__N_17runRingIh14FuncSumPostDivIhE7ProtoLLLi0ELi1ELi0EEEviiP15ncclDevWorkColl,@function
_ZN12_GLOBAL__N_17runRingIh14FuncSumPostDivIhE7ProtoLLLi0ELi1ELi0EEEviiP15ncclDevWorkColl: ; @_ZN12_GLOBAL__N_17runRingIh14FuncSumPostDivIhE7ProtoLLLi0ELi1ELi0EEEviiP15ncclDevWorkColl
; %bb.0:
	s_waitcnt vmcnt(0) expcnt(0) lgkmcnt(0)
	s_cbranch_execnz .LBB0_15
; %bb.1:
	v_mov_b32_e32 v4, v0
	s_clause 0x2
	flat_load_b32 v0, v[2:3]
	flat_load_b128 v[5:8], v[2:3] offset:72
	flat_load_b64 v[19:20], v[2:3] offset:88
	s_mov_b32 s0, exec_lo
                                        ; implicit-def: $vgpr54_vgpr55
                                        ; implicit-def: $vgpr25_vgpr26
	s_waitcnt vmcnt(2) lgkmcnt(2)
	v_and_b32_e32 v11, 0xff, v0
	v_bfe_u32 v10, v0, 8, 8
	s_delay_alu instid0(VALU_DEP_2) | instskip(SKIP_3) | instid1(VALU_DEP_1)
	v_not_b32_e32 v0, v11
	ds_load_b32 v9, v0
	ds_load_b64 v[23:24], v0
	v_add_nc_u32_e32 v12, v10, v0
	v_ashrrev_i32_e32 v13, 31, v12
	s_waitcnt vmcnt(1) lgkmcnt(3)
	v_mul_lo_u32 v14, v8, v12
	v_mad_u64_u32 v[17:18], null, v7, v12, 0
	s_delay_alu instid0(VALU_DEP_3) | instskip(NEXT) | instid1(VALU_DEP_1)
	v_mul_lo_u32 v12, v7, v13
	v_add3_u32 v18, v18, v12, v14
	s_waitcnt lgkmcnt(1)
	v_readfirstlane_b32 s16, v9
	v_cmpx_ne_u32_e64 v11, v9
	s_xor_b32 s0, exec_lo, s0
	s_cbranch_execz .LBB0_7
; %bb.2:
	s_mov_b32 s1, exec_lo
                                        ; implicit-def: $vgpr54_vgpr55
                                        ; implicit-def: $vgpr25_vgpr26
	v_cmpx_ne_u32_e64 v10, v9
	s_xor_b32 s1, exec_lo, s1
	s_cbranch_execz .LBB0_4
; %bb.3:
	flat_load_b64 v[10:11], v[2:3] offset:96
	v_add_nc_u32_e32 v0, v9, v0
	s_delay_alu instid0(VALU_DEP_1) | instskip(SKIP_2) | instid1(VALU_DEP_3)
	v_ashrrev_i32_e32 v9, 31, v0
	v_mul_lo_u32 v12, v8, v0
	v_mad_u64_u32 v[25:26], null, v7, v0, v[5:6]
	v_mul_lo_u32 v9, v7, v9
	s_delay_alu instid0(VALU_DEP_1)
	v_add3_u32 v26, v12, v26, v9
	s_waitcnt vmcnt(0) lgkmcnt(0)
	v_lshrrev_b64 v[54:55], 17, v[10:11]
.LBB0_4:
	s_and_not1_saveexec_b32 s1, s1
	s_cbranch_execz .LBB0_6
; %bb.5:
	flat_load_b32 v0, v[2:3] offset:100
	v_add_co_u32 v25, vcc_lo, v17, v5
	v_add_co_ci_u32_e32 v26, vcc_lo, v18, v6, vcc_lo
	s_waitcnt vmcnt(1)
	v_dual_mov_b32 v7, v19 :: v_dual_mov_b32 v8, v20
	s_waitcnt vmcnt(0) lgkmcnt(0)
	v_lshrrev_b32_e32 v54, 6, v0
.LBB0_6:
	s_or_b32 exec_lo, exec_lo, s1
.LBB0_7:
	s_and_not1_saveexec_b32 s0, s0
	s_cbranch_execz .LBB0_9
; %bb.8:
	flat_load_b64 v[7:8], v[2:3] offset:96
	v_mov_b32_e32 v25, 0
	v_mov_b32_e32 v26, 0
	s_waitcnt vmcnt(0) lgkmcnt(0)
	v_lshlrev_b64 v[54:55], 4, v[7:8]
	v_dual_mov_b32 v8, v6 :: v_dual_mov_b32 v7, v5
.LBB0_9:
	s_or_b32 exec_lo, exec_lo, s0
	s_load_b32 s0, s[8:9], 0x0
	v_mov_b32_e32 v0, 0
	flat_load_b32 v55, v[2:3] offset:104
	s_waitcnt lgkmcnt(0)
	s_cmp_lt_u32 s12, s0
	s_cselect_b32 s0, 12, 18
	s_delay_alu instid0(SALU_CYCLE_1)
	s_add_u32 s0, s8, s0
	s_addc_u32 s1, s9, 0
	s_clause 0x2
	flat_load_b128 v[9:12], v[2:3] offset:16
	flat_load_u16 v14, v[2:3] offset:8
	flat_load_b32 v13, v[2:3] offset:4
	global_load_u16 v0, v0, s[0:1]
	s_mov_b32 s1, 0
	s_cbranch_execnz .LBB0_17
; %bb.10:
	s_waitcnt vmcnt(0)
	ds_load_b32 v2, v0
	s_waitcnt lgkmcnt(1)
	v_lshrrev_b64 v[13:14], 31, v[13:14]
	s_delay_alu instid0(VALU_DEP_1)
	v_and_b32_e32 v14, 3, v13
	v_and_b32_e32 v13, 31, v4
	s_waitcnt lgkmcnt(0)
	v_cmp_gt_i32_e32 vcc_lo, 0, v2
	v_readfirstlane_b32 s6, v2
	s_cbranch_vccnz .LBB0_19
; %bb.11:
	v_cmp_eq_u32_e32 vcc_lo, 0, v13
	s_cbranch_execnz .LBB0_23
; %bb.12:
	ds_load_b64 v[15:16], v0
	v_mov_b32_e32 v3, 0
	v_and_b32_e32 v21, 0xffff, v14
	s_mov_b32 s1, 1
	s_delay_alu instid0(VALU_DEP_2) | instskip(SKIP_1) | instid1(VALU_DEP_1)
	v_lshlrev_b64 v[2:3], 3, v[2:3]
	s_waitcnt lgkmcnt(0)
	v_add_co_u32 v2, s0, v15, v2
	s_delay_alu instid0(VALU_DEP_1)
	v_add_co_ci_u32_e64 v3, s0, v16, v3, s0
	flat_load_b64 v[2:3], v[2:3]
	s_waitcnt vmcnt(0) lgkmcnt(0)
	v_mad_u64_u32 v[15:16], null, 0xa8, v21, v[2:3]
	s_clause 0x1
	flat_load_b64 v[29:30], v[15:16] offset:504
	flat_load_b64 v[32:33], v[15:16] offset:608
	v_add_co_u32 v2, s0, 0x1f8, v15
	s_delay_alu instid0(VALU_DEP_1) | instskip(NEXT) | instid1(VALU_DEP_1)
	v_add_co_ci_u32_e64 v3, s0, 0, v16, s0
	v_dual_cndmask_b32 v27, 0, v2 :: v_dual_cndmask_b32 v28, 0, v3
	s_cbranch_execz .LBB0_20
.LBB0_13:
	s_trap 2
	s_sendmsg_rtn_b32 s0, sendmsg(MSG_RTN_GET_DOORBELL)
	s_mov_b32 ttmp2, m0
	s_waitcnt lgkmcnt(0)
	s_and_b32 s0, s0, 0x3ff
	s_delay_alu instid0(SALU_CYCLE_1) | instskip(NEXT) | instid1(SALU_CYCLE_1)
	s_bitset1_b32 s0, 10
	s_mov_b32 m0, s0
	s_sendmsg sendmsg(MSG_INTERRUPT)
	s_mov_b32 m0, ttmp2
.LBB0_14:                               ; =>This Inner Loop Header: Depth=1
	s_sethalt 5
	s_branch .LBB0_14
.LBB0_15:
	s_trap 2
	s_sendmsg_rtn_b32 s0, sendmsg(MSG_RTN_GET_DOORBELL)
	s_mov_b32 ttmp2, m0
	s_waitcnt lgkmcnt(0)
	s_and_b32 s0, s0, 0x3ff
	s_delay_alu instid0(SALU_CYCLE_1) | instskip(NEXT) | instid1(SALU_CYCLE_1)
	s_bitset1_b32 s0, 10
	s_mov_b32 m0, s0
	s_sendmsg sendmsg(MSG_INTERRUPT)
	s_mov_b32 m0, ttmp2
.LBB0_16:                               ; =>This Inner Loop Header: Depth=1
	s_sethalt 5
	s_branch .LBB0_16
.LBB0_17:
	s_trap 2
	s_sendmsg_rtn_b32 s0, sendmsg(MSG_RTN_GET_DOORBELL)
	s_mov_b32 ttmp2, m0
	s_waitcnt lgkmcnt(0)
	s_and_b32 s0, s0, 0x3ff
	s_delay_alu instid0(SALU_CYCLE_1) | instskip(NEXT) | instid1(SALU_CYCLE_1)
	s_bitset1_b32 s0, 10
	s_mov_b32 m0, s0
	s_sendmsg sendmsg(MSG_INTERRUPT)
	s_mov_b32 m0, ttmp2
.LBB0_18:                               ; =>This Inner Loop Header: Depth=1
	s_sethalt 5
	s_branch .LBB0_18
.LBB0_19:
	v_mov_b32_e32 v27, 0
	v_mov_b32_e32 v28, 0
                                        ; implicit-def: $vgpr32_vgpr33
                                        ; implicit-def: $vgpr29_vgpr30
	s_cbranch_execnz .LBB0_13
.LBB0_20:
	ds_load_b32 v2, v0
	v_mov_b32_e32 v36, 0
	v_mov_b32_e32 v37, 0
	s_waitcnt lgkmcnt(0)
	v_cmp_gt_i32_e32 vcc_lo, 0, v2
	s_cbranch_vccnz .LBB0_25
; %bb.21:
	s_cbranch_execnz .LBB0_253
; %bb.22:
	ds_load_b64 v[15:16], v0
	v_mov_b32_e32 v3, 0
	s_delay_alu instid0(VALU_DEP_1) | instskip(SKIP_1) | instid1(VALU_DEP_1)
	v_lshlrev_b64 v[2:3], 3, v[2:3]
	s_waitcnt lgkmcnt(0)
	v_add_co_u32 v2, vcc_lo, v15, v2
	s_delay_alu instid0(VALU_DEP_2)
	v_add_co_ci_u32_e32 v3, vcc_lo, v16, v3, vcc_lo
	v_and_b32_e32 v16, 0xffff, v14
	v_cmp_eq_u32_e32 vcc_lo, 0, v13
	flat_load_b64 v[2:3], v[2:3]
	s_waitcnt vmcnt(0) lgkmcnt(0)
	v_mad_u64_u32 v[14:15], null, 0xa8, v16, v[2:3]
	s_clause 0x1
	flat_load_b64 v[38:39], v[14:15]
	flat_load_b64 v[21:22], v[14:15] offset:104
	v_dual_cndmask_b32 v35, 0, v15 :: v_dual_cndmask_b32 v34, 0, v14
	s_branch .LBB0_26
.LBB0_23:
	s_trap 2
	s_sendmsg_rtn_b32 s0, sendmsg(MSG_RTN_GET_DOORBELL)
	s_mov_b32 ttmp2, m0
	s_waitcnt lgkmcnt(0)
	s_and_b32 s0, s0, 0x3ff
	s_delay_alu instid0(SALU_CYCLE_1) | instskip(NEXT) | instid1(SALU_CYCLE_1)
	s_bitset1_b32 s0, 10
	s_mov_b32 m0, s0
	s_sendmsg sendmsg(MSG_INTERRUPT)
	s_mov_b32 m0, ttmp2
.LBB0_24:                               ; =>This Inner Loop Header: Depth=1
	s_sethalt 5
	s_branch .LBB0_24
.LBB0_25:
	s_delay_alu instid0(VALU_DEP_2)
	v_dual_mov_b32 v34, v36 :: v_dual_mov_b32 v35, v37
                                        ; implicit-def: $vgpr21_vgpr22
                                        ; implicit-def: $vgpr38_vgpr39
.LBB0_26:
	v_subrev_nc_u32_e32 v2, 32, v1
	v_cmp_gt_u32_e64 s0, s1, v13
                                        ; implicit-def: $vgpr48_vgpr49
	s_delay_alu instid0(VALU_DEP_2) | instskip(NEXT) | instid1(VALU_DEP_2)
	v_cmp_le_i32_e32 vcc_lo, v2, v4
	s_and_b32 s18, vcc_lo, s0
	s_delay_alu instid0(SALU_CYCLE_1)
	s_and_saveexec_b32 s0, s18
; %bb.27:
	s_clause 0x1
	flat_load_b64 v[36:37], v[27:28] offset:56
	flat_load_b64 v[48:49], v[27:28] offset:104
; %bb.28:
	s_or_b32 exec_lo, exec_lo, s0
	v_mov_b32_e32 v2, 0
	v_mov_b32_e32 v3, 0
	v_cmp_gt_i32_e64 s0, s1, v4
                                        ; implicit-def: $vgpr52_vgpr53
	s_delay_alu instid0(VALU_DEP_2) | instskip(SKIP_1) | instid1(VALU_DEP_3)
	v_dual_mov_b32 v14, v3 :: v_dual_mov_b32 v13, v2
	v_dual_mov_b32 v51, v3 :: v_dual_mov_b32 v50, v2
	s_and_saveexec_b32 s1, s0
	s_cbranch_execz .LBB0_30
; %bb.29:
	flat_load_b64 v[50:51], v[34:35] offset:56
	s_waitcnt vmcnt(0) lgkmcnt(0)
	flat_load_b64 v[52:53], v[50:51] glc dlc
	s_waitcnt vmcnt(0)
	flat_load_b128 v[13:16], v[34:35] offset:96
.LBB0_30:
	s_or_b32 exec_lo, exec_lo, s1
	v_and_b32_e32 v0, 0xffff, v0
	s_mov_b32 s19, exec_lo
	v_cmpx_ne_u64_e32 0, v[7:8]
	s_cbranch_execz .LBB0_241
; %bb.31:
	v_alignbit_b32 v98, v55, v55, 1
	v_add_co_u32 v3, vcc_lo, v19, v5
	v_add_co_ci_u32_e32 v6, vcc_lo, v20, v6, vcc_lo
	s_delay_alu instid0(VALU_DEP_3) | instskip(SKIP_3) | instid1(VALU_DEP_1)
	v_dual_mov_b32 v66, 0 :: v_dual_and_b32 v99, 0x7fffffff, v98
	s_ashr_i32 s17, s16, 31
	s_ashr_i32 s7, s6, 31
	s_lshl_b64 s[8:9], s[16:17], 2
	v_cvt_f32_u32_e32 v2, v99
	v_sub_nc_u32_e32 v5, 0, v99
	v_add_co_u32 v68, vcc_lo, v23, s8
	v_add_co_ci_u32_e32 v69, vcc_lo, s9, v24, vcc_lo
	s_delay_alu instid0(VALU_DEP_4)
	v_rcp_iflag_f32_e32 v2, v2
	v_add_co_u32 v112, vcc_lo, v3, v17
	v_add_co_ci_u32_e32 v113, vcc_lo, v6, v18, vcc_lo
	s_lshr_b32 s7, s7, 29
	v_dual_mov_b32 v67, 0 :: v_dual_lshlrev_b32 v100, 3, v4
	s_add_i32 s10, s6, s7
	s_waitcnt_depctr 0xfff
	v_dual_mul_f32 v2, 0x4f7ffffe, v2 :: v_dual_and_b32 v19, 31, v31
	v_ashrrev_i32_e32 v114, 31, v100
	v_add_co_u32 v68, vcc_lo, v68, -4
	s_delay_alu instid0(VALU_DEP_3) | instskip(NEXT) | instid1(VALU_DEP_4)
	v_cmp_eq_u32_e64 s6, 0, v19
	v_cvt_u32_f32_e32 v20, v2
	v_ashrrev_i32_e32 v2, 31, v1
	v_add_co_ci_u32_e32 v69, vcc_lo, -1, v69, vcc_lo
	v_add_co_u32 v116, vcc_lo, v11, v100
	s_delay_alu instid0(VALU_DEP_4)
	v_mul_lo_u32 v55, v5, v20
	v_ashrrev_i32_e32 v5, 31, v4
	v_add_co_ci_u32_e32 v117, vcc_lo, v12, v114, vcc_lo
	v_add_co_u32 v118, vcc_lo, v9, v100
	v_add_co_ci_u32_e32 v119, vcc_lo, v10, v114, vcc_lo
	v_mul_hi_u32 v64, v20, v55
	v_dual_mov_b32 v65, 0 :: v_dual_and_b32 v54, 0x1fffff0, v54
	s_ashr_i32 s8, s10, 3
	v_cmp_ne_u64_e64 s1, 0, v[50:51]
	s_and_b32 s20, s8, -16
	s_waitcnt vmcnt(0) lgkmcnt(0)
	v_cmp_ne_u64_e64 s2, 0, v[13:14]
	v_cmp_ne_u64_e64 s5, 0, v[36:37]
	v_add_nc_u32_e32 v3, v20, v64
	v_lshrrev_b32_e32 v64, 27, v2
	v_lshlrev_b64 v[19:20], 4, v[4:5]
	v_lshlrev_b64 v[5:6], 4, v[1:2]
	v_cmp_ne_u32_e64 s3, 32, v1
	v_mad_u64_u32 v[17:18], null, v3, -1, 0
	v_add_nc_u32_e32 v3, v1, v64
	v_add_co_u32 v128, s8, v38, v19
	v_cmp_ne_u32_e64 s4, v0, v1
	v_dual_mov_b32 v103, 1 :: v_dual_lshlrev_b32 v102, 6, v1
	v_mul_lo_u32 v2, v18, v99
	v_add_nc_u32_e32 v17, 1, v18
	v_ashrrev_i32_e32 v130, 5, v3
	v_cmp_gt_i32_e64 s7, 0, v98
	s_ashr_i32 s17, s10, 7
	v_add_co_ci_u32_e64 v129, s8, v39, v20, s8
	s_delay_alu instid0(VALU_DEP_3)
	v_ashrrev_i32_e32 v131, 31, v130
	v_not_b32_e32 v2, v2
	v_mov_b32_e32 v133, 0
	s_cmp_gt_i32 s16, 2
	s_mov_b32 s21, 0
	s_cselect_b32 s22, -1, 0
	v_cmp_ge_u32_e32 vcc_lo, v2, v99
	v_sub_nc_u32_e32 v9, v2, v99
	v_mov_b32_e32 v55, v65
	v_cndmask_b32_e32 v17, v18, v17, vcc_lo
	s_delay_alu instid0(VALU_DEP_3) | instskip(SKIP_2) | instid1(VALU_DEP_4)
	v_cndmask_b32_e32 v2, v2, v9, vcc_lo
	v_add_co_u32 v9, vcc_lo, v116, v25
	v_add_co_ci_u32_e32 v10, vcc_lo, v117, v26, vcc_lo
	v_add_nc_u32_e32 v3, 1, v17
	s_delay_alu instid0(VALU_DEP_4) | instskip(NEXT) | instid1(VALU_DEP_2)
	v_cmp_ge_u32_e32 vcc_lo, v2, v99
	v_dual_cndmask_b32 v132, v17, v3 :: v_dual_lshlrev_b32 v101, 3, v1
	v_mov_b32_e32 v2, v66
	s_delay_alu instid0(VALU_DEP_2)
	v_ashrrev_i32_e32 v115, 31, v101
	v_mov_b32_e32 v3, v67
.LBB0_32:                               ; =>This Loop Header: Depth=1
                                        ;     Child Loop BB0_39 Depth 2
                                        ;     Child Loop BB0_59 Depth 2
	;; [unrolled: 1-line block ×5, first 2 shown]
                                        ;       Child Loop BB0_92 Depth 3
                                        ;       Child Loop BB0_112 Depth 3
	;; [unrolled: 1-line block ×3, first 2 shown]
                                        ;         Child Loop BB0_138 Depth 4
                                        ;       Child Loop BB0_156 Depth 3
                                        ;       Child Loop BB0_173 Depth 3
                                        ;     Child Loop BB0_178 Depth 2
                                        ;       Child Loop BB0_186 Depth 3
                                        ;     Child Loop BB0_224 Depth 2
	s_waitcnt vmcnt(0) lgkmcnt(0)
	flat_load_b32 v19, v[68:69]
	v_sub_co_u32 v17, vcc_lo, v7, v66
	v_sub_co_ci_u32_e32 v18, vcc_lo, v8, v67, vcc_lo
	s_delay_alu instid0(VALU_DEP_1) | instskip(SKIP_1) | instid1(VALU_DEP_1)
	v_cmp_lt_u64_e32 vcc_lo, v[54:55], v[17:18]
	v_cndmask_b32_e32 v20, v17, v54, vcc_lo
	v_lshl_add_u32 v17, v20, 1, 14
	s_delay_alu instid0(VALU_DEP_1)
	v_and_b32_e32 v135, 0x7fffff0, v17
	s_and_saveexec_b32 s8, s1
	s_cbranch_execz .LBB0_50
; %bb.33:                               ;   in Loop: Header=BB0_32 Depth=1
	v_add_co_u32 v17, vcc_lo, v15, 1
	v_add_co_ci_u32_e32 v18, vcc_lo, 0, v16, vcc_lo
	v_add_co_u32 v70, vcc_lo, v52, 8
	v_add_co_ci_u32_e32 v71, vcc_lo, 0, v53, vcc_lo
	s_mov_b32 s9, exec_lo
	s_delay_alu instid0(VALU_DEP_1)
	v_cmpx_lt_u64_e64 v[70:71], v[17:18]
	s_cbranch_execz .LBB0_47
; %bb.34:                               ;   in Loop: Header=BB0_32 Depth=1
	s_sleep 1
	flat_load_b64 v[52:53], v[50:51] glc
	v_cmp_eq_u32_e32 vcc_lo, 0, v133
	s_and_saveexec_b32 s10, vcc_lo
	s_cbranch_execz .LBB0_46
; %bb.35:                               ;   in Loop: Header=BB0_32 Depth=1
	v_cndmask_b32_e64 v16, 0, 1, vcc_lo
	s_mov_b32 s11, 0
                                        ; implicit-def: $sgpr12
	s_branch .LBB0_39
.LBB0_36:                               ;   in Loop: Header=BB0_39 Depth=2
	s_or_b32 exec_lo, exec_lo, s15
	s_delay_alu instid0(SALU_CYCLE_1)
	s_or_not1_b32 s15, s23, exec_lo
.LBB0_37:                               ;   in Loop: Header=BB0_39 Depth=2
	s_or_b32 exec_lo, exec_lo, s14
	s_xor_b32 s14, s15, -1
	s_and_not1_b32 s12, s12, exec_lo
	s_and_b32 s14, s14, exec_lo
	s_delay_alu instid0(SALU_CYCLE_1)
	s_or_b32 s12, s12, s14
.LBB0_38:                               ;   in Loop: Header=BB0_39 Depth=2
	s_or_b32 exec_lo, exec_lo, s13
	s_delay_alu instid0(SALU_CYCLE_1) | instskip(NEXT) | instid1(SALU_CYCLE_1)
	s_and_b32 s13, exec_lo, s12
	s_or_b32 s11, s13, s11
	s_delay_alu instid0(SALU_CYCLE_1)
	s_and_not1_b32 exec_lo, exec_lo, s11
	s_cbranch_execz .LBB0_45
.LBB0_39:                               ;   Parent Loop BB0_32 Depth=1
                                        ; =>  This Inner Loop Header: Depth=2
	s_waitcnt vmcnt(0) lgkmcnt(0)
	v_add_co_u32 v70, vcc_lo, v52, 8
	v_add_co_ci_u32_e32 v71, vcc_lo, 0, v53, vcc_lo
	v_mov_b32_e32 v133, 0
	s_or_b32 s12, s12, exec_lo
	s_mov_b32 s13, exec_lo
	s_delay_alu instid0(VALU_DEP_2)
	v_cmpx_lt_u64_e64 v[70:71], v[17:18]
	s_cbranch_execz .LBB0_38
; %bb.40:                               ;   in Loop: Header=BB0_39 Depth=2
	s_sleep 1
	flat_load_b64 v[52:53], v[50:51] glc
	v_dual_mov_b32 v133, 0 :: v_dual_add_nc_u32 v16, 1, v16
	s_mov_b32 s15, -1
	s_mov_b32 s14, exec_lo
	s_delay_alu instid0(VALU_DEP_1)
	v_cmpx_eq_u32_e32 0x2710, v16
	s_cbranch_execz .LBB0_37
; %bb.41:                               ;   in Loop: Header=BB0_39 Depth=2
	s_cbranch_execnz .LBB0_259
; %bb.42:                               ;   in Loop: Header=BB0_39 Depth=2
	ds_load_b64 v[70:71], v0
	v_dual_mov_b32 v16, 0 :: v_dual_mov_b32 v133, 0
	s_mov_b32 s23, -1
	s_mov_b32 s15, exec_lo
	s_waitcnt vmcnt(0) lgkmcnt(0)
	s_waitcnt_vscnt null, 0x0
	flat_load_b32 v64, v[70:71] glc
	s_waitcnt vmcnt(0) lgkmcnt(0)
	buffer_gl1_inv
	buffer_gl0_inv
	v_cmpx_ne_u32_e32 0, v64
	s_cbranch_execz .LBB0_36
; %bb.43:                               ;   in Loop: Header=BB0_39 Depth=2
	ds_store_b32 v0, v64
	s_cbranch_execnz .LBB0_284
; %bb.44:                               ;   in Loop: Header=BB0_39 Depth=2
	v_mov_b32_e32 v133, 1
	s_xor_b32 s23, exec_lo, -1
	s_branch .LBB0_36
.LBB0_45:                               ;   in Loop: Header=BB0_32 Depth=1
	s_or_b32 exec_lo, exec_lo, s11
.LBB0_46:                               ;   in Loop: Header=BB0_32 Depth=1
	s_delay_alu instid0(SALU_CYCLE_1)
	s_or_b32 exec_lo, exec_lo, s10
.LBB0_47:                               ;   in Loop: Header=BB0_32 Depth=1
	s_delay_alu instid0(SALU_CYCLE_1)
	s_or_b32 exec_lo, exec_lo, s9
	s_and_saveexec_b32 s9, s2
	s_cbranch_execz .LBB0_49
; %bb.48:                               ;   in Loop: Header=BB0_32 Depth=1
	v_and_b32_e32 v64, 0x7ffffff8, v15
	v_and_b32_e32 v16, 7, v15
	s_delay_alu instid0(VALU_DEP_2) | instskip(NEXT) | instid1(VALU_DEP_2)
	v_cmp_eq_u64_e32 vcc_lo, 0x7ffffff8, v[64:65]
	v_mad_u64_u32 v[70:71], null, v16, 24, v[13:14]
	v_cndmask_b32_e64 v15, v135, s20, vcc_lo
	s_delay_alu instid0(VALU_DEP_1)
	v_ashrrev_i32_e32 v16, 31, v15
	flat_store_b64 v[70:71], v[15:16] offset:8 dlc
	s_waitcnt_vscnt null, 0x0
.LBB0_49:                               ;   in Loop: Header=BB0_32 Depth=1
	s_or_b32 exec_lo, exec_lo, s9
	v_dual_mov_b32 v15, v17 :: v_dual_mov_b32 v16, v18
.LBB0_50:                               ;   in Loop: Header=BB0_32 Depth=1
	s_or_b32 exec_lo, exec_lo, s8
	s_and_saveexec_b32 s8, s3
	s_cbranch_execz .LBB0_72
; %bb.51:                               ;   in Loop: Header=BB0_32 Depth=1
	s_and_saveexec_b32 s9, s4
	s_delay_alu instid0(SALU_CYCLE_1)
	s_xor_b32 s9, exec_lo, s9
	s_cbranch_execz .LBB0_69
; %bb.52:                               ;   in Loop: Header=BB0_32 Depth=1
	s_and_saveexec_b32 s10, s6
	s_cbranch_execz .LBB0_68
; %bb.53:                               ;   in Loop: Header=BB0_32 Depth=1
	s_mov_b32 s12, exec_lo
	s_mov_b32 s11, exec_lo
	v_mbcnt_lo_u32_b32 v17, s12, 0
	s_waitcnt vmcnt(0) lgkmcnt(0)
	s_waitcnt_vscnt null, 0x0
	buffer_gl1_inv
	buffer_gl0_inv
	v_cmpx_eq_u32_e32 0, v17
	s_cbranch_execz .LBB0_55
; %bb.54:                               ;   in Loop: Header=BB0_32 Depth=1
	s_bcnt1_i32_b32 s12, s12
	s_delay_alu instid0(SALU_CYCLE_1)
	v_mov_b32_e32 v64, s12
	ds_add_u64 v0, v[64:65]
	s_cbranch_execnz .LBB0_278
.LBB0_55:                               ;   in Loop: Header=BB0_32 Depth=1
	s_or_b32 exec_lo, exec_lo, s11
	s_cbranch_execnz .LBB0_265
; %bb.56:                               ;   in Loop: Header=BB0_32 Depth=1
	ds_load_b64 v[17:18], v0
	v_add_co_u32 v2, vcc_lo, v2, v130
	v_add_co_ci_u32_e32 v3, vcc_lo, v3, v131, vcc_lo
	s_mov_b32 s11, exec_lo
	s_waitcnt lgkmcnt(0)
	s_delay_alu instid0(VALU_DEP_1)
	v_cmpx_lt_u64_e64 v[17:18], v[2:3]
	s_cbranch_execz .LBB0_67
; %bb.57:                               ;   in Loop: Header=BB0_32 Depth=1
	s_mov_b32 s12, 0
	s_mov_b32 s15, 0
                                        ; implicit-def: $sgpr13
                                        ; implicit-def: $sgpr14
	s_branch .LBB0_59
.LBB0_58:                               ;   in Loop: Header=BB0_59 Depth=2
	s_or_b32 exec_lo, exec_lo, s25
	s_delay_alu instid0(SALU_CYCLE_1) | instskip(NEXT) | instid1(SALU_CYCLE_1)
	s_and_b32 s23, exec_lo, s24
	s_or_b32 s12, s23, s12
	s_and_not1_b32 s13, s13, exec_lo
	s_and_b32 s23, s14, exec_lo
	s_delay_alu instid0(SALU_CYCLE_1)
	s_or_b32 s13, s13, s23
	s_and_not1_b32 exec_lo, exec_lo, s12
	s_cbranch_execz .LBB0_65
.LBB0_59:                               ;   Parent Loop BB0_32 Depth=1
                                        ; =>  This Inner Loop Header: Depth=2
	s_add_i32 s15, s15, 1
                                        ; implicit-def: $sgpr24
	s_delay_alu instid0(SALU_CYCLE_1) | instskip(SKIP_1) | instid1(SALU_CYCLE_1)
	s_cmpk_lg_i32 s15, 0x2710
	s_cselect_b32 s23, -1, 0
	s_and_b32 vcc_lo, exec_lo, s23
	s_cbranch_vccz .LBB0_63
.LBB0_60:                               ;   in Loop: Header=BB0_59 Depth=2
	s_and_not1_b32 s14, s14, exec_lo
	s_and_b32 s25, s24, exec_lo
	s_mov_b32 s24, -1
	s_or_b32 s14, s14, s25
	s_and_saveexec_b32 s25, s23
	s_cbranch_execz .LBB0_58
; %bb.61:                               ;   in Loop: Header=BB0_59 Depth=2
	s_sleep 1
	s_cbranch_execnz .LBB0_292
; %bb.62:                               ;   in Loop: Header=BB0_59 Depth=2
	ds_load_b64 v[17:18], v0
	s_and_not1_b32 s14, s14, exec_lo
	s_waitcnt lgkmcnt(0)
	v_cmp_ge_u64_e32 vcc_lo, v[17:18], v[2:3]
	s_or_not1_b32 s24, vcc_lo, exec_lo
	s_branch .LBB0_58
.LBB0_63:                               ;   in Loop: Header=BB0_59 Depth=2
	s_cbranch_execnz .LBB0_300
; %bb.64:                               ;   in Loop: Header=BB0_59 Depth=2
	ds_load_b64 v[17:18], v0
	s_and_not1_b32 s23, s23, exec_lo
	s_mov_b32 s15, 0
	s_mov_b32 s24, -1
	s_waitcnt lgkmcnt(0)
	flat_load_b32 v17, v[17:18] glc
	s_waitcnt vmcnt(0) lgkmcnt(0)
	buffer_gl1_inv
	buffer_gl0_inv
	v_cmp_eq_u32_e32 vcc_lo, 0, v17
	s_and_b32 s25, vcc_lo, exec_lo
	s_delay_alu instid0(SALU_CYCLE_1)
	s_or_b32 s23, s23, s25
	s_branch .LBB0_60
.LBB0_65:                               ;   in Loop: Header=BB0_32 Depth=1
	s_or_b32 exec_lo, exec_lo, s12
	s_and_saveexec_b32 s12, s13
	s_delay_alu instid0(SALU_CYCLE_1)
	s_xor_b32 s12, exec_lo, s12
	s_cbranch_execz .LBB0_67
; %bb.66:                               ;   in Loop: Header=BB0_32 Depth=1
	ds_store_b32 v0, v103
	s_cbranch_execnz .LBB0_325
.LBB0_67:                               ;   in Loop: Header=BB0_32 Depth=1
	s_or_b32 exec_lo, exec_lo, s11
	;;#ASMSTART
	s_wakeup
	;;#ASMEND
.LBB0_68:                               ;   in Loop: Header=BB0_32 Depth=1
	s_or_b32 exec_lo, exec_lo, s10
.LBB0_69:                               ;   in Loop: Header=BB0_32 Depth=1
	s_and_not1_saveexec_b32 s9, s9
	s_cbranch_execz .LBB0_71
; %bb.70:                               ;   in Loop: Header=BB0_32 Depth=1
	s_waitcnt vmcnt(0) lgkmcnt(0)
	s_waitcnt_vscnt null, 0x0
	buffer_gl1_inv
	buffer_gl0_inv
	s_barrier
.LBB0_71:                               ;   in Loop: Header=BB0_32 Depth=1
	s_or_b32 exec_lo, exec_lo, s9
.LBB0_72:                               ;   in Loop: Header=BB0_32 Depth=1
	s_delay_alu instid0(SALU_CYCLE_1) | instskip(SKIP_2) | instid1(VALU_DEP_2)
	s_or_b32 exec_lo, exec_lo, s8
	v_sub_nc_u32_e32 v134, v20, v100
	v_mov_b32_e32 v70, v4
	v_cmp_lt_i32_e64 s8, 0, v134
	s_delay_alu instid0(VALU_DEP_1)
	s_and_saveexec_b32 s10, s8
	s_cbranch_execz .LBB0_80
; %bb.73:                               ;   in Loop: Header=BB0_32 Depth=1
	v_dual_mov_b32 v70, v21 :: v_dual_and_b32 v17, 7, v21
	s_waitcnt vmcnt(0) lgkmcnt(0)
	v_ashrrev_i32_e32 v20, 31, v19
	v_mad_u64_u32 v[80:81], null, v112, v19, v[9:10]
	s_delay_alu instid0(VALU_DEP_3) | instskip(SKIP_1) | instid1(VALU_DEP_4)
	v_mul_lo_u32 v17, v17, s17
	v_mul_lo_u32 v82, v113, v19
	;; [unrolled: 1-line block ×4, first 2 shown]
	v_add_co_u32 v71, vcc_lo, 0, 0
	v_mov_b32_e32 v64, v134
	s_mov_b32 s11, 0
	v_ashrrev_i32_e32 v18, 31, v17
	v_add3_u32 v81, v82, v81, v84
	v_add_lshl_u32 v86, v9, v83, 3
	s_delay_alu instid0(VALU_DEP_3) | instskip(SKIP_2) | instid1(VALU_DEP_3)
	v_lshlrev_b64 v[19:20], 4, v[17:18]
	v_add_co_ci_u32_e32 v18, vcc_lo, 1, v70, vcc_lo
	v_mov_b32_e32 v70, v4
	v_add_co_u32 v82, vcc_lo, v128, v19
	s_delay_alu instid0(VALU_DEP_4)
	v_add_co_ci_u32_e32 v83, vcc_lo, v129, v20, vcc_lo
	s_set_inst_prefetch_distance 0x1
	s_branch .LBB0_75
	.p2align	6
.LBB0_74:                               ;   in Loop: Header=BB0_75 Depth=2
	s_or_b32 exec_lo, exec_lo, s9
	s_waitcnt vmcnt(0) lgkmcnt(0)
	v_alignbit_b32 v17, v96, v17, v86
	v_alignbit_b32 v19, v87, v96, v86
	v_mov_b32_e32 v20, v18
	v_sub_nc_u32_e32 v64, v64, v101
	v_add_co_u32 v80, vcc_lo, v80, v101
	v_or_b32_e32 v17, v71, v17
	v_or_b32_e32 v19, v71, v19
	v_add_co_ci_u32_e32 v81, vcc_lo, v81, v115, vcc_lo
	v_cmp_gt_i32_e32 vcc_lo, 1, v64
	v_add_nc_u32_e32 v70, v70, v1
	global_store_b128 v[82:83], v[17:20], off
	v_add_co_u32 v82, s9, v82, v5
	v_add_nc_u32_e32 v86, v86, v102
	v_add_co_ci_u32_e64 v83, s9, v83, v6, s9
	s_or_b32 s11, vcc_lo, s11
	s_delay_alu instid0(SALU_CYCLE_1)
	s_and_not1_b32 exec_lo, exec_lo, s11
	s_cbranch_execz .LBB0_79
.LBB0_75:                               ;   Parent Loop BB0_32 Depth=1
                                        ; =>  This Inner Loop Header: Depth=2
	v_dual_mov_b32 v20, v81 :: v_dual_and_b32 v19, -4, v80
	v_min_u32_e32 v84, 8, v64
	v_dual_mov_b32 v96, 0 :: v_dual_and_b32 v85, 3, v80
	v_mov_b32_e32 v87, 0
	flat_load_b32 v17, v[19:20] glc
	v_add_co_u32 v84, s9, v85, v84
	s_delay_alu instid0(VALU_DEP_1) | instskip(SKIP_1) | instid1(VALU_DEP_1)
	v_add_co_ci_u32_e64 v85, null, 0, 0, s9
	s_mov_b32 s9, exec_lo
	v_cmpx_lt_u64_e32 4, v[84:85]
	s_cbranch_execz .LBB0_77
; %bb.76:                               ;   in Loop: Header=BB0_75 Depth=2
	flat_load_b32 v96, v[19:20] offset:4 glc
.LBB0_77:                               ;   in Loop: Header=BB0_75 Depth=2
	s_or_b32 exec_lo, exec_lo, s9
	s_delay_alu instid0(SALU_CYCLE_1)
	s_mov_b32 s9, exec_lo
	v_cmpx_lt_u64_e32 8, v[84:85]
	s_cbranch_execz .LBB0_74
; %bb.78:                               ;   in Loop: Header=BB0_75 Depth=2
	flat_load_b32 v87, v[19:20] offset:8 glc
	s_branch .LBB0_74
.LBB0_79:                               ;   in Loop: Header=BB0_32 Depth=1
	s_set_inst_prefetch_distance 0x2
	s_or_b32 exec_lo, exec_lo, s11
.LBB0_80:                               ;   in Loop: Header=BB0_32 Depth=1
	s_delay_alu instid0(SALU_CYCLE_1) | instskip(SKIP_2) | instid1(VALU_DEP_2)
	s_or_b32 exec_lo, exec_lo, s10
	v_and_b32_e32 v64, 0x7ffffff8, v21
	v_cmp_gt_i32_e64 s9, s17, v70
	v_cmp_eq_u64_e32 vcc_lo, 0x7ffffff8, v[64:65]
	s_delay_alu instid0(VALU_DEP_2) | instskip(NEXT) | instid1(SALU_CYCLE_1)
	s_and_b32 s9, vcc_lo, s9
	s_and_saveexec_b32 s10, s9
	s_cbranch_execz .LBB0_83
; %bb.81:                               ;   in Loop: Header=BB0_32 Depth=1
	v_dual_mov_b32 v64, v21 :: v_dual_and_b32 v17, 7, v21
	v_ashrrev_i32_e32 v71, 31, v70
	s_mov_b32 s11, 0
	s_delay_alu instid0(VALU_DEP_2) | instskip(SKIP_1) | instid1(VALU_DEP_2)
	v_mul_lo_u32 v17, v17, s17
	s_waitcnt vmcnt(0) lgkmcnt(0)
	v_lshlrev_b64 v[19:20], 4, v[70:71]
	s_delay_alu instid0(VALU_DEP_2) | instskip(NEXT) | instid1(VALU_DEP_1)
	v_ashrrev_i32_e32 v18, 31, v17
	v_lshlrev_b64 v[17:18], 4, v[17:18]
	s_delay_alu instid0(VALU_DEP_1) | instskip(NEXT) | instid1(VALU_DEP_2)
	v_add_co_u32 v19, vcc_lo, v19, v17
	v_add_co_ci_u32_e32 v20, vcc_lo, v20, v18, vcc_lo
	v_add_co_u32 v17, vcc_lo, 0, 0
	v_add_co_ci_u32_e32 v18, vcc_lo, 1, v64, vcc_lo
	s_delay_alu instid0(VALU_DEP_4) | instskip(NEXT) | instid1(VALU_DEP_4)
	v_add_co_u32 v80, vcc_lo, v38, v19
	v_add_co_ci_u32_e32 v81, vcc_lo, v39, v20, vcc_lo
.LBB0_82:                               ;   Parent Loop BB0_32 Depth=1
                                        ; =>  This Inner Loop Header: Depth=2
	s_delay_alu instid0(VALU_DEP_4) | instskip(NEXT) | instid1(VALU_DEP_4)
	v_dual_mov_b32 v19, v17 :: v_dual_add_nc_u32 v70, v70, v1
	v_mov_b32_e32 v20, v18
	s_delay_alu instid0(VALU_DEP_2) | instskip(SKIP_2) | instid1(VALU_DEP_1)
	v_cmp_le_i32_e32 vcc_lo, s17, v70
	global_store_b128 v[80:81], v[17:20], off
	v_add_co_u32 v80, s9, v80, v5
	v_add_co_ci_u32_e64 v81, s9, v81, v6, s9
	s_or_b32 s11, vcc_lo, s11
	s_delay_alu instid0(SALU_CYCLE_1)
	s_and_not1_b32 exec_lo, exec_lo, s11
	s_cbranch_execnz .LBB0_82
.LBB0_83:                               ;   in Loop: Header=BB0_32 Depth=1
	s_or_b32 exec_lo, exec_lo, s10
	v_add_co_u32 v144, vcc_lo, v66, v25
	v_add_co_ci_u32_e32 v145, vcc_lo, v67, v26, vcc_lo
	v_add_co_u32 v70, vcc_lo, v21, 1
	v_add_co_ci_u32_e32 v71, vcc_lo, 0, v22, vcc_lo
	s_and_not1_b32 vcc_lo, exec_lo, s22
	s_cbranch_vccnz .LBB0_175
; %bb.84:                               ;   in Loop: Header=BB0_32 Depth=1
	v_add_co_u32 v80, vcc_lo, v116, v144
	v_add_co_ci_u32_e32 v81, vcc_lo, v117, v145, vcc_lo
	v_add_nc_u16 v146, v21, 1
	s_mov_b32 s11, 2
.LBB0_85:                               ;   Parent Loop BB0_32 Depth=1
                                        ; =>  This Loop Header: Depth=2
                                        ;       Child Loop BB0_92 Depth 3
                                        ;       Child Loop BB0_112 Depth 3
	;; [unrolled: 1-line block ×3, first 2 shown]
                                        ;         Child Loop BB0_138 Depth 4
                                        ;       Child Loop BB0_156 Depth 3
                                        ;       Child Loop BB0_173 Depth 3
	s_delay_alu instid0(SALU_CYCLE_1) | instskip(NEXT) | instid1(SALU_CYCLE_1)
	s_sub_i32 s12, s16, s11
	s_ashr_i32 s13, s12, 31
	s_delay_alu instid0(SALU_CYCLE_1) | instskip(NEXT) | instid1(SALU_CYCLE_1)
	s_lshl_b64 s[12:13], s[12:13], 2
	v_add_co_u32 v17, vcc_lo, v23, s12
	v_add_co_ci_u32_e32 v18, vcc_lo, s13, v24, vcc_lo
	s_waitcnt vmcnt(0) lgkmcnt(0)
	flat_load_b32 v19, v[17:18]
	s_and_saveexec_b32 s9, s1
	s_cbranch_execz .LBB0_103
; %bb.86:                               ;   in Loop: Header=BB0_85 Depth=2
	v_add_co_u32 v17, vcc_lo, v15, 1
	v_add_co_ci_u32_e32 v18, vcc_lo, 0, v16, vcc_lo
	v_add_co_u32 v20, vcc_lo, v52, 8
	v_add_co_ci_u32_e32 v21, vcc_lo, 0, v53, vcc_lo
	s_mov_b32 s10, exec_lo
	s_delay_alu instid0(VALU_DEP_1)
	v_cmpx_lt_u64_e64 v[20:21], v[17:18]
	s_cbranch_execz .LBB0_100
; %bb.87:                               ;   in Loop: Header=BB0_85 Depth=2
	s_sleep 1
	flat_load_b64 v[52:53], v[50:51] glc
	v_cmp_eq_u32_e32 vcc_lo, 0, v133
	s_and_saveexec_b32 s12, vcc_lo
	s_cbranch_execz .LBB0_99
; %bb.88:                               ;   in Loop: Header=BB0_85 Depth=2
	v_cndmask_b32_e64 v16, 0, 1, vcc_lo
	s_mov_b32 s13, 0
                                        ; implicit-def: $sgpr14
	s_branch .LBB0_92
.LBB0_89:                               ;   in Loop: Header=BB0_92 Depth=3
	s_or_b32 exec_lo, exec_lo, s24
	s_delay_alu instid0(SALU_CYCLE_1)
	s_or_not1_b32 s24, s25, exec_lo
.LBB0_90:                               ;   in Loop: Header=BB0_92 Depth=3
	s_or_b32 exec_lo, exec_lo, s23
	s_xor_b32 s23, s24, -1
	s_and_not1_b32 s14, s14, exec_lo
	s_and_b32 s23, s23, exec_lo
	s_delay_alu instid0(SALU_CYCLE_1)
	s_or_b32 s14, s14, s23
.LBB0_91:                               ;   in Loop: Header=BB0_92 Depth=3
	s_or_b32 exec_lo, exec_lo, s15
	s_delay_alu instid0(SALU_CYCLE_1) | instskip(NEXT) | instid1(SALU_CYCLE_1)
	s_and_b32 s15, exec_lo, s14
	s_or_b32 s13, s15, s13
	s_delay_alu instid0(SALU_CYCLE_1)
	s_and_not1_b32 exec_lo, exec_lo, s13
	s_cbranch_execz .LBB0_98
.LBB0_92:                               ;   Parent Loop BB0_32 Depth=1
                                        ;     Parent Loop BB0_85 Depth=2
                                        ; =>    This Inner Loop Header: Depth=3
	s_waitcnt vmcnt(0) lgkmcnt(0)
	v_add_co_u32 v20, vcc_lo, v52, 8
	v_add_co_ci_u32_e32 v21, vcc_lo, 0, v53, vcc_lo
	v_mov_b32_e32 v133, 0
	s_or_b32 s14, s14, exec_lo
	s_mov_b32 s15, exec_lo
	s_delay_alu instid0(VALU_DEP_2)
	v_cmpx_lt_u64_e64 v[20:21], v[17:18]
	s_cbranch_execz .LBB0_91
; %bb.93:                               ;   in Loop: Header=BB0_92 Depth=3
	s_sleep 1
	flat_load_b64 v[52:53], v[50:51] glc
	v_dual_mov_b32 v133, 0 :: v_dual_add_nc_u32 v16, 1, v16
	s_mov_b32 s24, -1
	s_mov_b32 s23, exec_lo
	s_delay_alu instid0(VALU_DEP_1)
	v_cmpx_eq_u32_e32 0x2710, v16
	s_cbranch_execz .LBB0_90
; %bb.94:                               ;   in Loop: Header=BB0_92 Depth=3
	s_cbranch_execnz .LBB0_261
; %bb.95:                               ;   in Loop: Header=BB0_92 Depth=3
	ds_load_b64 v[20:21], v0
	v_dual_mov_b32 v16, 0 :: v_dual_mov_b32 v133, 0
	s_mov_b32 s25, -1
	s_mov_b32 s24, exec_lo
	s_waitcnt vmcnt(0) lgkmcnt(0)
	s_waitcnt_vscnt null, 0x0
	flat_load_b32 v20, v[20:21] glc
	s_waitcnt vmcnt(0) lgkmcnt(0)
	buffer_gl1_inv
	buffer_gl0_inv
	v_cmpx_ne_u32_e32 0, v20
	s_cbranch_execz .LBB0_89
; %bb.96:                               ;   in Loop: Header=BB0_92 Depth=3
	ds_store_b32 v0, v20
	s_cbranch_execnz .LBB0_288
; %bb.97:                               ;   in Loop: Header=BB0_92 Depth=3
	v_mov_b32_e32 v133, 1
	s_xor_b32 s25, exec_lo, -1
	s_branch .LBB0_89
.LBB0_98:                               ;   in Loop: Header=BB0_85 Depth=2
	s_or_b32 exec_lo, exec_lo, s13
.LBB0_99:                               ;   in Loop: Header=BB0_85 Depth=2
	s_delay_alu instid0(SALU_CYCLE_1)
	s_or_b32 exec_lo, exec_lo, s12
.LBB0_100:                              ;   in Loop: Header=BB0_85 Depth=2
	s_delay_alu instid0(SALU_CYCLE_1)
	s_or_b32 exec_lo, exec_lo, s10
	s_and_saveexec_b32 s10, s2
	s_cbranch_execz .LBB0_102
; %bb.101:                              ;   in Loop: Header=BB0_85 Depth=2
	v_and_b32_e32 v64, 0x7ffffff8, v15
	v_and_b32_e32 v16, 7, v15
	s_delay_alu instid0(VALU_DEP_2) | instskip(NEXT) | instid1(VALU_DEP_2)
	v_cmp_eq_u64_e32 vcc_lo, 0x7ffffff8, v[64:65]
	v_mad_u64_u32 v[20:21], null, v16, 24, v[13:14]
	v_cndmask_b32_e64 v15, v135, s20, vcc_lo
	s_delay_alu instid0(VALU_DEP_1)
	v_ashrrev_i32_e32 v16, 31, v15
	flat_store_b64 v[20:21], v[15:16] offset:8 dlc
	s_waitcnt_vscnt null, 0x0
.LBB0_102:                              ;   in Loop: Header=BB0_85 Depth=2
	s_or_b32 exec_lo, exec_lo, s10
	v_dual_mov_b32 v15, v17 :: v_dual_mov_b32 v16, v18
.LBB0_103:                              ;   in Loop: Header=BB0_85 Depth=2
	s_or_b32 exec_lo, exec_lo, s9
	s_and_saveexec_b32 s9, s3
	s_cbranch_execz .LBB0_125
; %bb.104:                              ;   in Loop: Header=BB0_85 Depth=2
	s_and_saveexec_b32 s10, s4
	s_delay_alu instid0(SALU_CYCLE_1)
	s_xor_b32 s10, exec_lo, s10
	s_cbranch_execz .LBB0_122
; %bb.105:                              ;   in Loop: Header=BB0_85 Depth=2
	s_and_saveexec_b32 s12, s6
	s_cbranch_execz .LBB0_121
; %bb.106:                              ;   in Loop: Header=BB0_85 Depth=2
	s_mov_b32 s14, exec_lo
	s_mov_b32 s13, exec_lo
	v_mbcnt_lo_u32_b32 v17, s14, 0
	s_waitcnt vmcnt(0) lgkmcnt(0)
	s_waitcnt_vscnt null, 0x0
	buffer_gl1_inv
	buffer_gl0_inv
	v_cmpx_eq_u32_e32 0, v17
	s_cbranch_execz .LBB0_108
; %bb.107:                              ;   in Loop: Header=BB0_85 Depth=2
	s_bcnt1_i32_b32 s14, s14
	s_delay_alu instid0(SALU_CYCLE_1)
	v_mov_b32_e32 v64, s14
	ds_add_u64 v0, v[64:65]
	s_cbranch_execnz .LBB0_286
.LBB0_108:                              ;   in Loop: Header=BB0_85 Depth=2
	s_or_b32 exec_lo, exec_lo, s13
	s_cbranch_execnz .LBB0_280
; %bb.109:                              ;   in Loop: Header=BB0_85 Depth=2
	ds_load_b64 v[17:18], v0
	v_add_co_u32 v2, vcc_lo, v2, v130
	v_add_co_ci_u32_e32 v3, vcc_lo, v3, v131, vcc_lo
	s_mov_b32 s13, exec_lo
	s_waitcnt lgkmcnt(0)
	s_delay_alu instid0(VALU_DEP_1)
	v_cmpx_lt_u64_e64 v[17:18], v[2:3]
	s_cbranch_execz .LBB0_120
; %bb.110:                              ;   in Loop: Header=BB0_85 Depth=2
	s_mov_b32 s14, 0
	s_mov_b32 s24, 0
                                        ; implicit-def: $sgpr15
                                        ; implicit-def: $sgpr23
	s_branch .LBB0_112
.LBB0_111:                              ;   in Loop: Header=BB0_112 Depth=3
	s_or_b32 exec_lo, exec_lo, s27
	s_delay_alu instid0(SALU_CYCLE_1) | instskip(NEXT) | instid1(SALU_CYCLE_1)
	s_and_b32 s25, exec_lo, s26
	s_or_b32 s14, s25, s14
	s_and_not1_b32 s15, s15, exec_lo
	s_and_b32 s25, s23, exec_lo
	s_delay_alu instid0(SALU_CYCLE_1)
	s_or_b32 s15, s15, s25
	s_and_not1_b32 exec_lo, exec_lo, s14
	s_cbranch_execz .LBB0_118
.LBB0_112:                              ;   Parent Loop BB0_32 Depth=1
                                        ;     Parent Loop BB0_85 Depth=2
                                        ; =>    This Inner Loop Header: Depth=3
	s_add_i32 s24, s24, 1
                                        ; implicit-def: $sgpr26
	s_delay_alu instid0(SALU_CYCLE_1) | instskip(SKIP_1) | instid1(SALU_CYCLE_1)
	s_cmpk_lg_i32 s24, 0x2710
	s_cselect_b32 s25, -1, 0
	s_and_b32 vcc_lo, exec_lo, s25
	s_cbranch_vccz .LBB0_116
.LBB0_113:                              ;   in Loop: Header=BB0_112 Depth=3
	s_and_not1_b32 s23, s23, exec_lo
	s_and_b32 s27, s26, exec_lo
	s_mov_b32 s26, -1
	s_or_b32 s23, s23, s27
	s_and_saveexec_b32 s27, s25
	s_cbranch_execz .LBB0_111
; %bb.114:                              ;   in Loop: Header=BB0_112 Depth=3
	s_sleep 1
	s_cbranch_execnz .LBB0_304
; %bb.115:                              ;   in Loop: Header=BB0_112 Depth=3
	ds_load_b64 v[17:18], v0
	s_and_not1_b32 s23, s23, exec_lo
	s_waitcnt lgkmcnt(0)
	v_cmp_ge_u64_e32 vcc_lo, v[17:18], v[2:3]
	s_or_not1_b32 s26, vcc_lo, exec_lo
	s_branch .LBB0_111
.LBB0_116:                              ;   in Loop: Header=BB0_112 Depth=3
	s_cbranch_execnz .LBB0_308
; %bb.117:                              ;   in Loop: Header=BB0_112 Depth=3
	ds_load_b64 v[17:18], v0
	s_and_not1_b32 s25, s25, exec_lo
	s_mov_b32 s24, 0
	s_mov_b32 s26, -1
	s_waitcnt lgkmcnt(0)
	flat_load_b32 v17, v[17:18] glc
	s_waitcnt vmcnt(0) lgkmcnt(0)
	buffer_gl1_inv
	buffer_gl0_inv
	v_cmp_eq_u32_e32 vcc_lo, 0, v17
	s_and_b32 s27, vcc_lo, exec_lo
	s_delay_alu instid0(SALU_CYCLE_1)
	s_or_b32 s25, s25, s27
	s_branch .LBB0_113
.LBB0_118:                              ;   in Loop: Header=BB0_85 Depth=2
	s_or_b32 exec_lo, exec_lo, s14
	s_and_saveexec_b32 s14, s15
	s_delay_alu instid0(SALU_CYCLE_1)
	s_xor_b32 s14, exec_lo, s14
	s_cbranch_execz .LBB0_120
; %bb.119:                              ;   in Loop: Header=BB0_85 Depth=2
	ds_store_b32 v0, v103
	s_cbranch_execnz .LBB0_329
.LBB0_120:                              ;   in Loop: Header=BB0_85 Depth=2
	s_or_b32 exec_lo, exec_lo, s13
	;;#ASMSTART
	s_wakeup
	;;#ASMEND
.LBB0_121:                              ;   in Loop: Header=BB0_85 Depth=2
	s_or_b32 exec_lo, exec_lo, s12
.LBB0_122:                              ;   in Loop: Header=BB0_85 Depth=2
	s_and_not1_saveexec_b32 s10, s10
	s_cbranch_execz .LBB0_124
; %bb.123:                              ;   in Loop: Header=BB0_85 Depth=2
	s_waitcnt vmcnt(0) lgkmcnt(0)
	s_waitcnt_vscnt null, 0x0
	buffer_gl1_inv
	buffer_gl0_inv
	s_barrier
.LBB0_124:                              ;   in Loop: Header=BB0_85 Depth=2
	s_or_b32 exec_lo, exec_lo, s10
.LBB0_125:                              ;   in Loop: Header=BB0_85 Depth=2
	s_delay_alu instid0(SALU_CYCLE_1)
	s_or_b32 exec_lo, exec_lo, s9
	v_mov_b32_e32 v82, v4
	s_and_saveexec_b32 s12, s8
	s_cbranch_execz .LBB0_147
; %bb.126:                              ;   in Loop: Header=BB0_85 Depth=2
	v_dual_mov_b32 v82, v70 :: v_dual_and_b32 v17, 7, v32
	v_and_b32_e32 v18, 7, v70
	s_waitcnt vmcnt(0) lgkmcnt(0)
	v_ashrrev_i32_e32 v21, 31, v19
	v_mad_u64_u32 v[84:85], null, v112, v19, v[80:81]
	v_mul_lo_u32 v17, v17, s17
	v_mul_lo_u32 v20, v18, s17
	v_mul_lo_u32 v19, v113, v19
	v_mul_lo_u32 v22, v112, v21
	v_add_nc_u32_e32 v64, 1, v32
	v_mov_b32_e32 v160, v134
	s_mov_b32 s13, 0
	v_ashrrev_i32_e32 v18, 31, v17
	v_ashrrev_i32_e32 v21, 31, v20
	v_add3_u32 v85, v19, v85, v22
	s_delay_alu instid0(VALU_DEP_3) | instskip(NEXT) | instid1(VALU_DEP_3)
	v_lshlrev_b64 v[17:18], 4, v[17:18]
	v_lshlrev_b64 v[19:20], 4, v[20:21]
	s_delay_alu instid0(VALU_DEP_2) | instskip(NEXT) | instid1(VALU_DEP_3)
	v_add_co_u32 v147, vcc_lo, v29, v17
	v_add_co_ci_u32_e32 v148, vcc_lo, v30, v18, vcc_lo
	s_delay_alu instid0(VALU_DEP_3) | instskip(NEXT) | instid1(VALU_DEP_4)
	v_add_co_u32 v149, vcc_lo, v38, v19
	v_add_co_ci_u32_e32 v150, vcc_lo, v39, v20, vcc_lo
	v_add_co_u32 v151, vcc_lo, 0, 0
	v_add_co_ci_u32_e32 v18, vcc_lo, 1, v82, vcc_lo
	v_mov_b32_e32 v82, v4
	s_branch .LBB0_130
.LBB0_127:                              ;   in Loop: Header=BB0_130 Depth=3
	s_or_b32 exec_lo, exec_lo, s15
	s_xor_b32 s9, s23, -1
	s_delay_alu instid0(SALU_CYCLE_1) | instskip(NEXT) | instid1(SALU_CYCLE_1)
	s_and_saveexec_b32 s15, s9
	s_xor_b32 s9, exec_lo, s15
	s_delay_alu instid0(SALU_CYCLE_1) | instskip(NEXT) | instid1(SALU_CYCLE_1)
	s_and_not1_saveexec_b32 s9, s9
	s_or_b32 exec_lo, exec_lo, s9
.LBB0_128:                              ;   in Loop: Header=BB0_130 Depth=3
	s_delay_alu instid0(SALU_CYCLE_1)
	s_or_b32 exec_lo, exec_lo, s10
.LBB0_129:                              ;   in Loop: Header=BB0_130 Depth=3
	s_delay_alu instid0(SALU_CYCLE_1)
	s_or_b32 exec_lo, exec_lo, s14
	v_lshlrev_b32_e32 v20, 3, v84
	v_and_b32_e32 v22, 0xff00ff, v19
	v_and_b32_e32 v19, 0xff00ff00, v19
	;; [unrolled: 1-line block ×4, first 2 shown]
	s_waitcnt vmcnt(0) lgkmcnt(0)
	v_alignbit_b32 v17, v162, v17, v20
	v_alignbit_b32 v20, v161, v162, v20
	v_add_co_u32 v84, vcc_lo, v84, v101
	v_sub_nc_u32_e32 v160, v160, v101
	s_delay_alu instid0(VALU_DEP_4)
	v_and_b32_e32 v96, 0xff00ff, v17
	v_and_b32_e32 v17, 0xff00ff00, v17
	;; [unrolled: 1-line block ×4, first 2 shown]
	v_add_co_ci_u32_e32 v85, vcc_lo, v85, v115, vcc_lo
	v_add_nc_u32_e32 v22, v22, v96
	v_add_nc_u32_e32 v17, v19, v17
	;; [unrolled: 1-line block ×4, first 2 shown]
	v_add_co_u32 v21, vcc_lo, v149, v86
	s_delay_alu instid0(VALU_DEP_4) | instskip(SKIP_1) | instid1(VALU_DEP_4)
	v_perm_b32 v17, v17, v22, 0x7020500
	v_add_co_ci_u32_e32 v22, vcc_lo, v150, v87, vcc_lo
	v_perm_b32 v19, v20, v19, 0x7020500
	v_mov_b32_e32 v20, v18
	v_cmp_gt_i32_e32 vcc_lo, 1, v160
	v_or_b32_e32 v17, v151, v17
	v_add_nc_u32_e32 v82, v82, v1
	v_or_b32_e32 v19, v151, v19
	s_or_b32 s13, vcc_lo, s13
	global_store_b128 v[21:22], v[17:20], off
	s_and_not1_b32 exec_lo, exec_lo, s13
	s_cbranch_execz .LBB0_146
.LBB0_130:                              ;   Parent Loop BB0_32 Depth=1
                                        ;     Parent Loop BB0_85 Depth=2
                                        ; =>    This Loop Header: Depth=3
                                        ;         Child Loop BB0_138 Depth 4
	v_dual_mov_b32 v20, v85 :: v_dual_and_b32 v19, -4, v84
	v_min_u32_e32 v21, 8, v160
	v_dual_mov_b32 v161, 0 :: v_dual_and_b32 v22, 3, v84
	v_mov_b32_e32 v162, 0
	flat_load_b32 v17, v[19:20] glc
	v_add_co_u32 v21, s9, v22, v21
	s_delay_alu instid0(VALU_DEP_1) | instskip(SKIP_1) | instid1(VALU_DEP_1)
	v_add_co_ci_u32_e64 v22, null, 0, 0, s9
	s_mov_b32 s9, exec_lo
	v_cmpx_lt_u64_e32 4, v[21:22]
	s_cbranch_execz .LBB0_132
; %bb.131:                              ;   in Loop: Header=BB0_130 Depth=3
	flat_load_b32 v162, v[19:20] offset:4 glc
.LBB0_132:                              ;   in Loop: Header=BB0_130 Depth=3
	s_or_b32 exec_lo, exec_lo, s9
	s_delay_alu instid0(SALU_CYCLE_1)
	s_mov_b32 s9, exec_lo
	v_cmpx_lt_u64_e32 8, v[21:22]
	s_cbranch_execz .LBB0_134
; %bb.133:                              ;   in Loop: Header=BB0_130 Depth=3
	flat_load_b32 v161, v[19:20] offset:8 glc
.LBB0_134:                              ;   in Loop: Header=BB0_130 Depth=3
	s_or_b32 exec_lo, exec_lo, s9
	v_ashrrev_i32_e32 v83, 31, v82
	s_delay_alu instid0(VALU_DEP_1) | instskip(NEXT) | instid1(VALU_DEP_1)
	v_lshlrev_b64 v[86:87], 4, v[82:83]
	v_add_co_u32 v96, vcc_lo, v147, v86
	s_delay_alu instid0(VALU_DEP_2)
	v_add_co_ci_u32_e32 v97, vcc_lo, v148, v87, vcc_lo
	v_cmp_eq_u32_e32 vcc_lo, 0, v133
	;;#ASMSTART
	global_load_b128 v[19:22], v[96:97], off glc slc dlc
s_waitcnt vmcnt(0)

	;;#ASMEND
	s_and_saveexec_b32 s14, vcc_lo
	s_cbranch_execz .LBB0_129
; %bb.135:                              ;   in Loop: Header=BB0_130 Depth=3
	v_cmp_ne_u32_e64 s9, v64, v20
	v_cmp_ne_u32_e64 s10, v64, v22
	v_mov_b32_e32 v133, 0
	s_delay_alu instid0(VALU_DEP_2) | instskip(NEXT) | instid1(SALU_CYCLE_1)
	s_or_b32 s9, s9, s10
	s_and_saveexec_b32 s10, s9
	s_cbranch_execz .LBB0_128
; %bb.136:                              ;   in Loop: Header=BB0_130 Depth=3
	v_cndmask_b32_e64 v83, 0, 1, vcc_lo
	s_mov_b32 s15, 0
                                        ; implicit-def: $sgpr23
                                        ; implicit-def: $sgpr24
	s_branch .LBB0_138
.LBB0_137:                              ;   in Loop: Header=BB0_138 Depth=4
	s_or_b32 exec_lo, exec_lo, s25
	s_delay_alu instid0(SALU_CYCLE_1) | instskip(NEXT) | instid1(SALU_CYCLE_1)
	s_and_b32 s9, exec_lo, s9
	s_or_b32 s15, s9, s15
	s_and_not1_b32 s9, s23, exec_lo
	s_and_b32 s23, s24, exec_lo
	s_delay_alu instid0(SALU_CYCLE_1)
	s_or_b32 s23, s9, s23
	s_and_not1_b32 exec_lo, exec_lo, s15
	s_cbranch_execz .LBB0_127
.LBB0_138:                              ;   Parent Loop BB0_32 Depth=1
                                        ;     Parent Loop BB0_85 Depth=2
                                        ;       Parent Loop BB0_130 Depth=3
                                        ; =>      This Inner Loop Header: Depth=4
	s_delay_alu instid0(VALU_DEP_1)
	v_add_nc_u32_e32 v83, 1, v83
	v_mov_b32_e32 v133, 0
	s_mov_b32 s9, -1
	s_mov_b32 s26, -1
	s_mov_b32 s25, exec_lo
	;;#ASMSTART
	global_load_b128 v[19:22], v[96:97], off glc slc dlc
s_waitcnt vmcnt(0)

	;;#ASMEND
	v_cmpx_eq_u32_e32 0x2710, v83
	s_cbranch_execz .LBB0_144
; %bb.139:                              ;   in Loop: Header=BB0_138 Depth=4
	s_cbranch_execnz .LBB0_255
; %bb.140:                              ;   in Loop: Header=BB0_138 Depth=4
	ds_load_b64 v[163:164], v0
	v_mov_b32_e32 v83, 0
	v_mov_b32_e32 v133, 0
	s_mov_b32 s27, -1
	s_mov_b32 s26, exec_lo
	s_waitcnt vmcnt(0) lgkmcnt(0)
	s_waitcnt_vscnt null, 0x0
	flat_load_b32 v163, v[163:164] glc
	s_waitcnt vmcnt(0) lgkmcnt(0)
	buffer_gl1_inv
	buffer_gl0_inv
	v_cmpx_ne_u32_e32 0, v163
	s_cbranch_execz .LBB0_143
; %bb.141:                              ;   in Loop: Header=BB0_138 Depth=4
	ds_store_b32 v0, v163
	s_cbranch_execnz .LBB0_263
; %bb.142:                              ;   in Loop: Header=BB0_138 Depth=4
	v_mov_b32_e32 v133, 1
	s_xor_b32 s27, exec_lo, -1
.LBB0_143:                              ;   in Loop: Header=BB0_138 Depth=4
	s_or_b32 exec_lo, exec_lo, s26
	s_delay_alu instid0(SALU_CYCLE_1)
	s_or_not1_b32 s26, s27, exec_lo
.LBB0_144:                              ;   in Loop: Header=BB0_138 Depth=4
	s_or_b32 exec_lo, exec_lo, s25
	s_delay_alu instid0(SALU_CYCLE_1)
	s_or_b32 s24, s24, exec_lo
	s_and_saveexec_b32 s25, s26
	s_cbranch_execz .LBB0_137
; %bb.145:                              ;   in Loop: Header=BB0_138 Depth=4
	v_cmp_eq_u32_e32 vcc_lo, v64, v20
	v_cmp_eq_u32_e64 s9, v64, v22
	s_and_not1_b32 s24, s24, exec_lo
	s_delay_alu instid0(VALU_DEP_1) | instskip(NEXT) | instid1(SALU_CYCLE_1)
	s_and_b32 s9, vcc_lo, s9
	s_or_not1_b32 s9, s9, exec_lo
	s_branch .LBB0_137
.LBB0_146:                              ;   in Loop: Header=BB0_85 Depth=2
	s_or_b32 exec_lo, exec_lo, s13
.LBB0_147:                              ;   in Loop: Header=BB0_85 Depth=2
	s_delay_alu instid0(SALU_CYCLE_1)
	s_or_b32 exec_lo, exec_lo, s12
	s_and_saveexec_b32 s9, s3
	s_cbranch_execz .LBB0_169
; %bb.148:                              ;   in Loop: Header=BB0_85 Depth=2
	s_and_saveexec_b32 s10, s4
	s_delay_alu instid0(SALU_CYCLE_1)
	s_xor_b32 s10, exec_lo, s10
	s_cbranch_execz .LBB0_166
; %bb.149:                              ;   in Loop: Header=BB0_85 Depth=2
	s_and_saveexec_b32 s12, s6
	s_cbranch_execz .LBB0_165
; %bb.150:                              ;   in Loop: Header=BB0_85 Depth=2
	s_mov_b32 s14, exec_lo
	s_mov_b32 s13, exec_lo
	v_mbcnt_lo_u32_b32 v17, s14, 0
	s_waitcnt vmcnt(0) lgkmcnt(0)
	s_waitcnt_vscnt null, 0x0
	buffer_gl1_inv
	buffer_gl0_inv
	v_cmpx_eq_u32_e32 0, v17
	s_cbranch_execz .LBB0_152
; %bb.151:                              ;   in Loop: Header=BB0_85 Depth=2
	s_bcnt1_i32_b32 s14, s14
	s_delay_alu instid0(SALU_CYCLE_1)
	v_mov_b32_e32 v64, s14
	ds_add_u64 v0, v[64:65]
	s_cbranch_execnz .LBB0_298
.LBB0_152:                              ;   in Loop: Header=BB0_85 Depth=2
	s_or_b32 exec_lo, exec_lo, s13
	s_cbranch_execnz .LBB0_290
; %bb.153:                              ;   in Loop: Header=BB0_85 Depth=2
	ds_load_b64 v[17:18], v0
	v_add_co_u32 v2, vcc_lo, v2, v130
	v_add_co_ci_u32_e32 v3, vcc_lo, v3, v131, vcc_lo
	s_mov_b32 s13, exec_lo
	s_waitcnt lgkmcnt(0)
	s_delay_alu instid0(VALU_DEP_1)
	v_cmpx_lt_u64_e64 v[17:18], v[2:3]
	s_cbranch_execz .LBB0_164
; %bb.154:                              ;   in Loop: Header=BB0_85 Depth=2
	s_mov_b32 s14, 0
	s_mov_b32 s24, 0
                                        ; implicit-def: $sgpr15
                                        ; implicit-def: $sgpr23
	s_branch .LBB0_156
.LBB0_155:                              ;   in Loop: Header=BB0_156 Depth=3
	s_or_b32 exec_lo, exec_lo, s27
	s_delay_alu instid0(SALU_CYCLE_1) | instskip(NEXT) | instid1(SALU_CYCLE_1)
	s_and_b32 s25, exec_lo, s26
	s_or_b32 s14, s25, s14
	s_and_not1_b32 s15, s15, exec_lo
	s_and_b32 s25, s23, exec_lo
	s_delay_alu instid0(SALU_CYCLE_1)
	s_or_b32 s15, s15, s25
	s_and_not1_b32 exec_lo, exec_lo, s14
	s_cbranch_execz .LBB0_162
.LBB0_156:                              ;   Parent Loop BB0_32 Depth=1
                                        ;     Parent Loop BB0_85 Depth=2
                                        ; =>    This Inner Loop Header: Depth=3
	s_add_i32 s24, s24, 1
                                        ; implicit-def: $sgpr26
	s_delay_alu instid0(SALU_CYCLE_1) | instskip(SKIP_1) | instid1(SALU_CYCLE_1)
	s_cmpk_lg_i32 s24, 0x2710
	s_cselect_b32 s25, -1, 0
	s_and_b32 vcc_lo, exec_lo, s25
	s_cbranch_vccz .LBB0_160
.LBB0_157:                              ;   in Loop: Header=BB0_156 Depth=3
	s_and_not1_b32 s23, s23, exec_lo
	s_and_b32 s27, s26, exec_lo
	s_mov_b32 s26, -1
	s_or_b32 s23, s23, s27
	s_and_saveexec_b32 s27, s25
	s_cbranch_execz .LBB0_155
; %bb.158:                              ;   in Loop: Header=BB0_156 Depth=3
	s_sleep 1
	s_cbranch_execnz .LBB0_310
; %bb.159:                              ;   in Loop: Header=BB0_156 Depth=3
	ds_load_b64 v[17:18], v0
	s_and_not1_b32 s23, s23, exec_lo
	s_waitcnt lgkmcnt(0)
	v_cmp_ge_u64_e32 vcc_lo, v[17:18], v[2:3]
	s_or_not1_b32 s26, vcc_lo, exec_lo
	s_branch .LBB0_155
.LBB0_160:                              ;   in Loop: Header=BB0_156 Depth=3
	s_cbranch_execnz .LBB0_312
; %bb.161:                              ;   in Loop: Header=BB0_156 Depth=3
	ds_load_b64 v[17:18], v0
	s_and_not1_b32 s25, s25, exec_lo
	s_mov_b32 s24, 0
	s_mov_b32 s26, -1
	s_waitcnt lgkmcnt(0)
	flat_load_b32 v17, v[17:18] glc
	s_waitcnt vmcnt(0) lgkmcnt(0)
	buffer_gl1_inv
	buffer_gl0_inv
	v_cmp_eq_u32_e32 vcc_lo, 0, v17
	s_and_b32 s27, vcc_lo, exec_lo
	s_delay_alu instid0(SALU_CYCLE_1)
	s_or_b32 s25, s25, s27
	s_branch .LBB0_157
.LBB0_162:                              ;   in Loop: Header=BB0_85 Depth=2
	s_or_b32 exec_lo, exec_lo, s14
	s_and_saveexec_b32 s14, s15
	s_delay_alu instid0(SALU_CYCLE_1)
	s_xor_b32 s14, exec_lo, s14
	s_cbranch_execz .LBB0_164
; %bb.163:                              ;   in Loop: Header=BB0_85 Depth=2
	ds_store_b32 v0, v103
	s_cbranch_execnz .LBB0_331
.LBB0_164:                              ;   in Loop: Header=BB0_85 Depth=2
	s_or_b32 exec_lo, exec_lo, s13
	;;#ASMSTART
	s_wakeup
	;;#ASMEND
.LBB0_165:                              ;   in Loop: Header=BB0_85 Depth=2
	s_or_b32 exec_lo, exec_lo, s12
.LBB0_166:                              ;   in Loop: Header=BB0_85 Depth=2
	s_and_not1_saveexec_b32 s10, s10
	s_cbranch_execz .LBB0_168
; %bb.167:                              ;   in Loop: Header=BB0_85 Depth=2
	s_waitcnt vmcnt(0) lgkmcnt(0)
	s_waitcnt_vscnt null, 0x0
	buffer_gl1_inv
	buffer_gl0_inv
	s_barrier
.LBB0_168:                              ;   in Loop: Header=BB0_85 Depth=2
	s_or_b32 exec_lo, exec_lo, s10
.LBB0_169:                              ;   in Loop: Header=BB0_85 Depth=2
	s_delay_alu instid0(SALU_CYCLE_1)
	s_or_b32 exec_lo, exec_lo, s9
	s_and_saveexec_b32 s9, s5
	s_cbranch_execz .LBB0_171
; %bb.170:                              ;   in Loop: Header=BB0_85 Depth=2
	v_add_co_u32 v48, vcc_lo, v48, 1
	v_add_co_ci_u32_e32 v49, vcc_lo, 0, v49, vcc_lo
	s_waitcnt vmcnt(0) lgkmcnt(0)
	s_waitcnt_vscnt null, 0x0
	flat_store_b64 v[36:37], v[48:49]
.LBB0_171:                              ;   in Loop: Header=BB0_85 Depth=2
	s_or_b32 exec_lo, exec_lo, s9
	v_and_b32_e32 v64, 0x7ffffff8, v70
	v_cmp_gt_i32_e64 s9, s17, v82
	s_delay_alu instid0(VALU_DEP_2) | instskip(NEXT) | instid1(VALU_DEP_2)
	v_cmp_eq_u64_e32 vcc_lo, 0x7ffffff8, v[64:65]
	s_and_b32 s9, vcc_lo, s9
	s_delay_alu instid0(SALU_CYCLE_1)
	s_and_saveexec_b32 s10, s9
	s_cbranch_execz .LBB0_174
; %bb.172:                              ;   in Loop: Header=BB0_85 Depth=2
	v_and_b32_e32 v17, 7, v146
	v_ashrrev_i32_e32 v83, 31, v82
	v_mov_b32_e32 v21, v70
	s_mov_b32 s12, 0
	s_delay_alu instid0(VALU_DEP_3) | instskip(SKIP_2) | instid1(VALU_DEP_2)
	v_mul_lo_u32 v17, s17, v17
	s_waitcnt vmcnt(0) lgkmcnt(0)
	v_lshlrev_b64 v[19:20], 4, v[82:83]
	v_ashrrev_i32_e32 v18, 31, v17
	s_delay_alu instid0(VALU_DEP_1) | instskip(NEXT) | instid1(VALU_DEP_1)
	v_lshlrev_b64 v[17:18], 4, v[17:18]
	v_add_co_u32 v19, vcc_lo, v19, v17
	s_delay_alu instid0(VALU_DEP_2) | instskip(SKIP_2) | instid1(VALU_DEP_4)
	v_add_co_ci_u32_e32 v20, vcc_lo, v20, v18, vcc_lo
	v_add_co_u32 v17, vcc_lo, 0, 0
	v_add_co_ci_u32_e32 v18, vcc_lo, 1, v21, vcc_lo
	v_add_co_u32 v21, vcc_lo, v38, v19
	s_delay_alu instid0(VALU_DEP_4)
	v_add_co_ci_u32_e32 v22, vcc_lo, v39, v20, vcc_lo
.LBB0_173:                              ;   Parent Loop BB0_32 Depth=1
                                        ;     Parent Loop BB0_85 Depth=2
                                        ; =>    This Inner Loop Header: Depth=3
	s_delay_alu instid0(VALU_DEP_4) | instskip(NEXT) | instid1(VALU_DEP_4)
	v_dual_mov_b32 v19, v17 :: v_dual_add_nc_u32 v82, v82, v1
	v_mov_b32_e32 v20, v18
	s_delay_alu instid0(VALU_DEP_2) | instskip(SKIP_2) | instid1(VALU_DEP_1)
	v_cmp_le_i32_e32 vcc_lo, s17, v82
	global_store_b128 v[21:22], v[17:20], off
	v_add_co_u32 v21, s9, v21, v5
	v_add_co_ci_u32_e64 v22, s9, v22, v6, s9
	s_or_b32 s12, vcc_lo, s12
	s_delay_alu instid0(SALU_CYCLE_1)
	s_and_not1_b32 exec_lo, exec_lo, s12
	s_cbranch_execnz .LBB0_173
.LBB0_174:                              ;   in Loop: Header=BB0_85 Depth=2
	s_or_b32 exec_lo, exec_lo, s10
	v_add_co_u32 v32, vcc_lo, v32, 1
	v_add_co_ci_u32_e32 v33, vcc_lo, 0, v33, vcc_lo
	v_add_co_u32 v70, vcc_lo, v70, 1
	v_add_co_ci_u32_e32 v71, vcc_lo, 0, v71, vcc_lo
	v_add_nc_u16 v146, v146, 1
	s_add_i32 s11, s11, 1
	s_delay_alu instid0(SALU_CYCLE_1)
	s_cmp_eq_u32 s11, s16
	s_cbranch_scc0 .LBB0_85
.LBB0_175:                              ;   in Loop: Header=BB0_32 Depth=1
	s_delay_alu instid0(VALU_DEP_1)
	v_dual_mov_b32 v21, v70 :: v_dual_mov_b32 v22, v71
	s_and_saveexec_b32 s23, s8
	s_cbranch_execz .LBB0_215
; %bb.176:                              ;   in Loop: Header=BB0_32 Depth=1
	flat_load_b32 v64, v[23:24]
	v_and_b32_e32 v17, 7, v32
	s_waitcnt vmcnt(1) lgkmcnt(1)
	v_add_co_u32 v19, vcc_lo, v11, v144
	v_add_co_ci_u32_e32 v20, vcc_lo, v12, v145, vcc_lo
	s_delay_alu instid0(VALU_DEP_3) | instskip(SKIP_1) | instid1(VALU_DEP_1)
	v_mul_lo_u32 v17, v17, s17
	s_mov_b32 s24, 0
	v_ashrrev_i32_e32 v18, 31, v17
	s_delay_alu instid0(VALU_DEP_1)
	v_lshlrev_b64 v[17:18], 4, v[17:18]
	s_waitcnt vmcnt(0) lgkmcnt(0)
	v_ashrrev_i32_e32 v70, 31, v64
	v_mul_lo_u32 v82, v113, v64
	v_mad_u64_u32 v[80:81], null, v112, v64, v[19:20]
	v_add_nc_u32_e32 v64, 1, v32
	s_delay_alu instid0(VALU_DEP_4)
	v_mul_lo_u32 v19, v112, v70
	v_add_co_u32 v70, vcc_lo, v118, v144
	v_add_co_ci_u32_e32 v71, vcc_lo, v119, v145, vcc_lo
	v_add_co_u32 v83, vcc_lo, v29, v17
	v_add_co_ci_u32_e32 v84, vcc_lo, v30, v18, vcc_lo
	v_add3_u32 v19, v82, v81, v19
	v_add_co_u32 v85, vcc_lo, v80, v100
	v_mov_b32_e32 v80, v4
	s_delay_alu instid0(VALU_DEP_3)
	v_add_co_ci_u32_e32 v86, vcc_lo, v19, v114, vcc_lo
	s_branch .LBB0_178
.LBB0_177:                              ;   in Loop: Header=BB0_178 Depth=2
	v_sub_nc_u32_e32 v134, v134, v101
	v_add_co_u32 v85, vcc_lo, v85, v101
	v_add_co_ci_u32_e32 v86, vcc_lo, v86, v115, vcc_lo
	s_delay_alu instid0(VALU_DEP_3) | instskip(SKIP_1) | instid1(VALU_DEP_1)
	v_cmp_gt_i32_e32 vcc_lo, 1, v134
	v_add_co_u32 v70, s8, v70, v101
	v_add_co_ci_u32_e64 v71, s8, v71, v115, s8
	v_add_nc_u32_e32 v80, v80, v1
	s_or_b32 s24, vcc_lo, s24
	s_delay_alu instid0(SALU_CYCLE_1)
	s_and_not1_b32 exec_lo, exec_lo, s24
	s_cbranch_execz .LBB0_214
.LBB0_178:                              ;   Parent Loop BB0_32 Depth=1
                                        ; =>  This Loop Header: Depth=2
                                        ;       Child Loop BB0_186 Depth 3
	s_delay_alu instid0(VALU_DEP_1)
	v_dual_mov_b32 v18, v86 :: v_dual_and_b32 v17, -4, v85
	v_min_u32_e32 v19, 8, v134
	v_dual_mov_b32 v87, 0 :: v_dual_and_b32 v20, 3, v85
	v_mov_b32_e32 v97, 0
	flat_load_b32 v96, v[17:18] glc
	v_add_co_u32 v19, s8, v20, v19
	s_delay_alu instid0(VALU_DEP_1) | instskip(SKIP_1) | instid1(VALU_DEP_1)
	v_add_co_ci_u32_e64 v20, null, 0, 0, s8
	s_mov_b32 s8, exec_lo
	v_cmpx_lt_u64_e32 4, v[19:20]
	s_cbranch_execz .LBB0_180
; %bb.179:                              ;   in Loop: Header=BB0_178 Depth=2
	flat_load_b32 v97, v[17:18] offset:4 glc
.LBB0_180:                              ;   in Loop: Header=BB0_178 Depth=2
	s_or_b32 exec_lo, exec_lo, s8
	s_delay_alu instid0(SALU_CYCLE_1)
	s_mov_b32 s8, exec_lo
	v_cmpx_lt_u64_e32 8, v[19:20]
	s_cbranch_execz .LBB0_182
; %bb.181:                              ;   in Loop: Header=BB0_178 Depth=2
	flat_load_b32 v87, v[17:18] offset:8 glc
.LBB0_182:                              ;   in Loop: Header=BB0_178 Depth=2
	s_or_b32 exec_lo, exec_lo, s8
	v_ashrrev_i32_e32 v81, 31, v80
	s_delay_alu instid0(VALU_DEP_1) | instskip(NEXT) | instid1(VALU_DEP_1)
	v_lshlrev_b64 v[17:18], 4, v[80:81]
	v_add_co_u32 v81, vcc_lo, v83, v17
	s_delay_alu instid0(VALU_DEP_2)
	v_add_co_ci_u32_e32 v82, vcc_lo, v84, v18, vcc_lo
	v_cmp_eq_u32_e32 vcc_lo, 0, v133
	;;#ASMSTART
	global_load_b128 v[17:20], v[81:82], off glc slc dlc
s_waitcnt vmcnt(0)

	;;#ASMEND
	s_and_saveexec_b32 s10, vcc_lo
	s_cbranch_execz .LBB0_196
; %bb.183:                              ;   in Loop: Header=BB0_178 Depth=2
	v_cmp_ne_u32_e64 s8, v64, v18
	v_cmp_ne_u32_e64 s9, v64, v20
	v_mov_b32_e32 v133, 0
	s_delay_alu instid0(VALU_DEP_2) | instskip(NEXT) | instid1(SALU_CYCLE_1)
	s_or_b32 s8, s8, s9
	s_and_saveexec_b32 s9, s8
	s_cbranch_execz .LBB0_195
; %bb.184:                              ;   in Loop: Header=BB0_178 Depth=2
	v_cndmask_b32_e64 v135, 0, 1, vcc_lo
	s_mov_b32 s11, 0
                                        ; implicit-def: $sgpr12
                                        ; implicit-def: $sgpr13
	s_branch .LBB0_186
.LBB0_185:                              ;   in Loop: Header=BB0_186 Depth=3
	s_or_b32 exec_lo, exec_lo, s14
	s_delay_alu instid0(SALU_CYCLE_1) | instskip(NEXT) | instid1(SALU_CYCLE_1)
	s_and_b32 s8, exec_lo, s8
	s_or_b32 s11, s8, s11
	s_and_not1_b32 s8, s12, exec_lo
	s_and_b32 s12, s13, exec_lo
	s_delay_alu instid0(SALU_CYCLE_1)
	s_or_b32 s12, s8, s12
	s_and_not1_b32 exec_lo, exec_lo, s11
	s_cbranch_execz .LBB0_194
.LBB0_186:                              ;   Parent Loop BB0_32 Depth=1
                                        ;     Parent Loop BB0_178 Depth=2
                                        ; =>    This Inner Loop Header: Depth=3
	s_delay_alu instid0(VALU_DEP_1)
	v_add_nc_u32_e32 v135, 1, v135
	v_mov_b32_e32 v133, 0
	s_mov_b32 s8, -1
	s_mov_b32 s15, -1
	s_mov_b32 s14, exec_lo
	;;#ASMSTART
	global_load_b128 v[17:20], v[81:82], off glc slc dlc
s_waitcnt vmcnt(0)

	;;#ASMEND
	v_cmpx_eq_u32_e32 0x2710, v135
	s_cbranch_execz .LBB0_192
; %bb.187:                              ;   in Loop: Header=BB0_186 Depth=3
	s_cbranch_execnz .LBB0_257
; %bb.188:                              ;   in Loop: Header=BB0_186 Depth=3
	ds_load_b64 v[144:145], v0
	v_mov_b32_e32 v135, 0
	v_mov_b32_e32 v133, 0
	s_mov_b32 s25, -1
	s_mov_b32 s15, exec_lo
	s_waitcnt vmcnt(0) lgkmcnt(0)
	s_waitcnt_vscnt null, 0x0
	flat_load_b32 v144, v[144:145] glc
	s_waitcnt vmcnt(0) lgkmcnt(0)
	buffer_gl1_inv
	buffer_gl0_inv
	v_cmpx_ne_u32_e32 0, v144
	s_cbranch_execz .LBB0_191
; %bb.189:                              ;   in Loop: Header=BB0_186 Depth=3
	ds_store_b32 v0, v144
	s_cbranch_execnz .LBB0_269
; %bb.190:                              ;   in Loop: Header=BB0_186 Depth=3
	v_mov_b32_e32 v133, 1
	s_xor_b32 s25, exec_lo, -1
.LBB0_191:                              ;   in Loop: Header=BB0_186 Depth=3
	s_or_b32 exec_lo, exec_lo, s15
	s_delay_alu instid0(SALU_CYCLE_1)
	s_or_not1_b32 s15, s25, exec_lo
.LBB0_192:                              ;   in Loop: Header=BB0_186 Depth=3
	s_or_b32 exec_lo, exec_lo, s14
	s_delay_alu instid0(SALU_CYCLE_1)
	s_or_b32 s13, s13, exec_lo
	s_and_saveexec_b32 s14, s15
	s_cbranch_execz .LBB0_185
; %bb.193:                              ;   in Loop: Header=BB0_186 Depth=3
	v_cmp_eq_u32_e32 vcc_lo, v64, v18
	v_cmp_eq_u32_e64 s8, v64, v20
	s_and_not1_b32 s13, s13, exec_lo
	s_delay_alu instid0(VALU_DEP_1) | instskip(NEXT) | instid1(SALU_CYCLE_1)
	s_and_b32 s8, vcc_lo, s8
	s_or_not1_b32 s8, s8, exec_lo
	s_branch .LBB0_185
.LBB0_194:                              ;   in Loop: Header=BB0_178 Depth=2
	s_or_b32 exec_lo, exec_lo, s11
	s_xor_b32 s8, s12, -1
	s_delay_alu instid0(SALU_CYCLE_1) | instskip(NEXT) | instid1(SALU_CYCLE_1)
	s_and_saveexec_b32 s11, s8
	s_xor_b32 s8, exec_lo, s11
	s_delay_alu instid0(SALU_CYCLE_1) | instskip(NEXT) | instid1(SALU_CYCLE_1)
	s_and_not1_saveexec_b32 s8, s8
	s_or_b32 exec_lo, exec_lo, s8
.LBB0_195:                              ;   in Loop: Header=BB0_178 Depth=2
	s_delay_alu instid0(SALU_CYCLE_1)
	s_or_b32 exec_lo, exec_lo, s9
.LBB0_196:                              ;   in Loop: Header=BB0_178 Depth=2
	s_delay_alu instid0(SALU_CYCLE_1) | instskip(SKIP_4) | instid1(VALU_DEP_3)
	s_or_b32 exec_lo, exec_lo, s10
	v_lshlrev_b32_e32 v18, 3, v85
	v_and_b32_e32 v81, 0xff00ff, v17
	v_and_b32_e32 v17, 0xff00ff00, v17
	s_waitcnt vmcnt(0) lgkmcnt(0)
	v_alignbit_b32 v20, v97, v96, v18
	v_alignbit_b32 v18, v87, v97, v18
	s_delay_alu instid0(VALU_DEP_2) | instskip(SKIP_1) | instid1(VALU_DEP_3)
	v_and_b32_e32 v82, 0xff00ff, v20
	v_and_b32_e32 v20, 0xff00ff00, v20
	;; [unrolled: 1-line block ×4, first 2 shown]
	s_delay_alu instid0(VALU_DEP_4) | instskip(NEXT) | instid1(VALU_DEP_4)
	v_add_co_u32 v81, null, v81, v82
	v_add_nc_u32_e32 v17, v17, v20
	v_and_b32_e32 v20, 0xff00ff, v19
	v_and_b32_e32 v19, 0xff00ff00, v19
	s_delay_alu instid0(VALU_DEP_4)
	v_bfe_i32 v82, v81, 0, 8
	v_lshrrev_b32_e32 v97, 16, v81
	v_perm_b32 v96, v17, v81, 0x7020500
	v_lshrrev_b32_e32 v144, 8, v17
	v_add_co_u32 v20, null, v20, v87
	v_cmp_gt_i16_e32 vcc_lo, 0, v82
	s_delay_alu instid0(VALU_DEP_4)
	v_and_b32_e32 v135, 0x8000, v96
	v_sub_nc_u16 v82, 0, v81
	v_bfe_i32 v145, v97, 0, 8
	v_add_nc_u32_e32 v18, v19, v18
	s_and_b32 vcc_lo, s7, vcc_lo
	v_cmp_ne_u32_e64 s8, 0, v135
	v_cndmask_b32_e32 v81, v81, v82, vcc_lo
	v_sub_nc_u16 v82, 0, v144
	v_cmp_gt_i16_e64 s9, 0, v145
	v_sub_nc_u16 v135, 0, v97
	s_and_b32 s8, s7, s8
	v_and_b32_e32 v81, 0xff, v81
	v_cndmask_b32_e64 v82, v144, v82, s8
	s_and_b32 s9, s7, s9
	v_and_b32_e32 v19, v98, v96
	v_cndmask_b32_e64 v97, v97, v135, s9
	v_mul_hi_u32 v87, v81, v132
	v_and_b32_e32 v82, 0xff, v82
	v_lshrrev_b32_e32 v17, 24, v17
	v_cmp_lt_i32_e64 s10, -1, v19
	v_and_b32_e32 v96, 0xff, v97
	v_bfe_i32 v146, v20, 0, 8
	v_mul_hi_u32 v97, v82, v132
	v_sub_nc_u16 v144, 0, v17
	v_mul_lo_u32 v135, v99, v87
	v_mul_hi_u32 v147, v96, v132
	v_cmp_gt_i16_e64 s11, 0, v146
	v_perm_b32 v145, v18, v20, 0x7020500
	v_cndmask_b32_e64 v17, v144, v17, s10
	v_lshrrev_b32_e32 v146, 8, v18
	v_mul_lo_u32 v19, v99, v97
	s_and_b32 s11, s7, s11
	v_sub_nc_u32_e32 v81, v81, v135
	v_mul_lo_u32 v144, v99, v147
	v_and_b32_e32 v17, 0xff, v17
	v_sub_nc_u16 v135, 0, v20
	v_lshrrev_b32_e32 v18, 24, v18
	v_cmp_ge_u32_e64 s12, v81, v99
	v_sub_nc_u32_e32 v19, v82, v19
	s_delay_alu instid0(VALU_DEP_4) | instskip(SKIP_1) | instid1(VALU_DEP_4)
	v_cndmask_b32_e64 v82, v20, v135, s11
	v_sub_nc_u32_e32 v96, v96, v144
	v_add_co_ci_u32_e64 v81, s12, 0, v87, s12
	s_delay_alu instid0(VALU_DEP_4)
	v_cmp_ge_u32_e64 s12, v19, v99
	v_mul_hi_u32 v87, v17, v132
	v_lshrrev_b32_e32 v20, 16, v20
	v_and_b32_e32 v82, 0xff, v82
	v_sub_nc_u16 v149, 0, v18
	v_add_co_ci_u32_e64 v19, s12, 0, v97, s12
	v_cmp_ge_u32_e64 s12, v96, v99
	v_and_b32_e32 v97, 0x8000, v145
	v_mul_lo_u32 v144, v99, v87
	v_mul_hi_u32 v148, v82, v132
	v_and_b32_e32 v145, v98, v145
	v_add_co_ci_u32_e64 v96, s12, 0, v147, s12
	v_bfe_i32 v147, v20, 0, 8
	v_cmp_ne_u32_e64 s12, 0, v97
	v_sub_nc_u16 v97, 0, v146
	v_sub_nc_u32_e32 v17, v17, v144
	v_cmp_lt_i32_e64 s14, -1, v145
	v_cmp_gt_i16_e64 s13, 0, v147
	s_and_b32 s12, s7, s12
	v_sub_nc_u16 v147, 0, v20
	v_cndmask_b32_e64 v97, v146, v97, s12
	v_cmp_ge_u32_e64 s15, v17, v99
	s_and_b32 s13, s7, s13
	v_mul_lo_u32 v144, v99, v148
	v_cndmask_b32_e64 v20, v20, v147, s13
	v_and_b32_e32 v97, 0xff, v97
	v_cndmask_b32_e64 v18, v149, v18, s14
	v_sub_nc_u32_e32 v135, 0, v81
	s_delay_alu instid0(VALU_DEP_4) | instskip(SKIP_1) | instid1(VALU_DEP_3)
	v_and_b32_e32 v145, 0xff, v20
	v_add_co_ci_u32_e64 v20, s15, 0, v87, s15
	v_cndmask_b32_e32 v17, v81, v135, vcc_lo
	v_mul_hi_u32 v87, v97, v132
	s_delay_alu instid0(VALU_DEP_4)
	v_mul_hi_u32 v147, v145, v132
	v_and_b32_e32 v146, 0xff, v18
	v_sub_nc_u32_e32 v82, v82, v144
	v_sub_nc_u32_e32 v18, 0, v19
	;; [unrolled: 1-line block ×4, first 2 shown]
	v_mul_hi_u32 v149, v146, v132
	v_mul_lo_u32 v144, v99, v87
	v_mul_lo_u32 v150, v99, v147
	v_cmp_ge_u32_e32 vcc_lo, v82, v99
	v_cndmask_b32_e64 v18, v19, v18, s8
	v_cndmask_b32_e64 v19, v96, v81, s9
	;; [unrolled: 1-line block ×3, first 2 shown]
	v_mul_lo_u32 v151, v99, v149
	v_sub_nc_u32_e32 v81, v97, v144
	v_add_co_ci_u32_e32 v82, vcc_lo, 0, v148, vcc_lo
	v_sub_nc_u32_e32 v97, v145, v150
	s_delay_alu instid0(VALU_DEP_3) | instskip(NEXT) | instid1(VALU_DEP_3)
	v_cmp_ge_u32_e32 vcc_lo, v81, v99
	v_sub_nc_u32_e32 v96, 0, v82
	v_sub_nc_u32_e32 v135, v146, v151
	v_add_co_ci_u32_e32 v87, vcc_lo, 0, v87, vcc_lo
	v_cmp_ge_u32_e32 vcc_lo, v97, v99
	s_delay_alu instid0(VALU_DEP_4) | instskip(NEXT) | instid1(VALU_DEP_3)
	v_cndmask_b32_e64 v81, v82, v96, s11
	v_sub_nc_u32_e32 v82, 0, v87
	v_add_co_ci_u32_e32 v97, vcc_lo, 0, v147, vcc_lo
	v_cmp_ge_u32_e32 vcc_lo, v135, v99
	s_delay_alu instid0(VALU_DEP_3) | instskip(NEXT) | instid1(VALU_DEP_3)
	v_cndmask_b32_e64 v82, v87, v82, s12
	v_sub_nc_u32_e32 v96, 0, v97
	v_add_co_ci_u32_e32 v135, vcc_lo, 0, v149, vcc_lo
	v_cmp_lt_u32_e32 vcc_lo, 7, v134
	s_delay_alu instid0(VALU_DEP_3) | instskip(NEXT) | instid1(VALU_DEP_3)
	v_cndmask_b32_e64 v96, v97, v96, s13
	v_sub_nc_u32_e32 v145, 0, v135
	v_cndmask_b32_e64 v144, 0, 1, vcc_lo
	;;#ASMSTART
	;;#ASMEND
	s_delay_alu instid0(VALU_DEP_1) | instskip(NEXT) | instid1(VALU_DEP_3)
	v_cmp_ne_u32_e64 s8, 0, v144
	v_cndmask_b32_e64 v87, v145, v135, s14
	s_delay_alu instid0(VALU_DEP_2)
	s_cmp_lg_u32 s8, exec_lo
	s_mov_b32 s8, -1
	s_cbranch_scc0 .LBB0_212
; %bb.197:                              ;   in Loop: Header=BB0_178 Depth=2
	s_mov_b32 s9, exec_lo
	flat_store_b8 v[70:71], v17
	v_cmpx_ne_u32_e32 1, v134
	s_cbranch_execz .LBB0_199
; %bb.198:                              ;   in Loop: Header=BB0_178 Depth=2
	flat_store_b8 v[70:71], v18 offset:1
.LBB0_199:                              ;   in Loop: Header=BB0_178 Depth=2
	s_or_b32 exec_lo, exec_lo, s9
	s_delay_alu instid0(SALU_CYCLE_1)
	s_mov_b32 s9, exec_lo
	v_cmpx_lt_u32_e32 2, v134
	s_cbranch_execz .LBB0_201
; %bb.200:                              ;   in Loop: Header=BB0_178 Depth=2
	flat_store_b8 v[70:71], v19 offset:2
.LBB0_201:                              ;   in Loop: Header=BB0_178 Depth=2
	s_or_b32 exec_lo, exec_lo, s9
	s_delay_alu instid0(SALU_CYCLE_1)
	s_mov_b32 s9, exec_lo
	v_cmpx_lt_u32_e32 3, v134
	;; [unrolled: 8-line block ×5, first 2 shown]
	s_cbranch_execz .LBB0_209
; %bb.208:                              ;   in Loop: Header=BB0_178 Depth=2
	flat_store_b8 v[70:71], v96 offset:6
.LBB0_209:                              ;   in Loop: Header=BB0_178 Depth=2
	s_or_b32 exec_lo, exec_lo, s9
	s_and_saveexec_b32 s8, vcc_lo
	s_cbranch_execz .LBB0_211
; %bb.210:                              ;   in Loop: Header=BB0_178 Depth=2
	flat_store_b8 v[70:71], v87 offset:7
.LBB0_211:                              ;   in Loop: Header=BB0_178 Depth=2
	s_or_b32 exec_lo, exec_lo, s8
	s_mov_b32 s8, 0
.LBB0_212:                              ;   in Loop: Header=BB0_178 Depth=2
	s_delay_alu instid0(SALU_CYCLE_1)
	s_and_b32 vcc_lo, exec_lo, s8
	s_cbranch_vccz .LBB0_177
; %bb.213:                              ;   in Loop: Header=BB0_178 Depth=2
	v_perm_b32 v19, v20, v19, 0x6050400
	v_and_b32_e32 v20, 0xff, v96
	v_lshlrev_b32_e32 v82, 8, v82
	v_lshlrev_b32_e32 v18, 8, v18
	;; [unrolled: 1-line block ×3, first 2 shown]
	v_perm_b32 v17, v19, v17, 0x5040c00
	v_lshlrev_b32_e32 v19, 16, v20
	v_perm_b32 v20, v82, v81, 0xc0c0500
	s_delay_alu instid0(VALU_DEP_3) | instskip(NEXT) | instid1(VALU_DEP_2)
	v_and_or_b32 v17, 0xff00, v18, v17
	v_or3_b32 v18, v87, v19, v20
	global_store_b64 v[70:71], v[17:18], off
	s_branch .LBB0_177
.LBB0_214:                              ;   in Loop: Header=BB0_32 Depth=1
	s_or_b32 exec_lo, exec_lo, s24
.LBB0_215:                              ;   in Loop: Header=BB0_32 Depth=1
	s_delay_alu instid0(SALU_CYCLE_1)
	s_or_b32 exec_lo, exec_lo, s23
	s_and_saveexec_b32 s8, s3
	s_cbranch_execz .LBB0_237
; %bb.216:                              ;   in Loop: Header=BB0_32 Depth=1
	s_and_saveexec_b32 s9, s4
	s_delay_alu instid0(SALU_CYCLE_1)
	s_xor_b32 s9, exec_lo, s9
	s_cbranch_execz .LBB0_234
; %bb.217:                              ;   in Loop: Header=BB0_32 Depth=1
	s_and_saveexec_b32 s10, s6
	s_cbranch_execz .LBB0_233
; %bb.218:                              ;   in Loop: Header=BB0_32 Depth=1
	s_mov_b32 s12, exec_lo
	s_mov_b32 s11, exec_lo
	v_mbcnt_lo_u32_b32 v17, s12, 0
	s_waitcnt vmcnt(0) lgkmcnt(0)
	s_waitcnt_vscnt null, 0x0
	buffer_gl1_inv
	buffer_gl0_inv
	v_cmpx_eq_u32_e32 0, v17
	s_cbranch_execz .LBB0_220
; %bb.219:                              ;   in Loop: Header=BB0_32 Depth=1
	s_bcnt1_i32_b32 s12, s12
	s_delay_alu instid0(SALU_CYCLE_1)
	v_mov_b32_e32 v64, s12
	ds_add_u64 v0, v[64:65]
	s_cbranch_execnz .LBB0_306
.LBB0_220:                              ;   in Loop: Header=BB0_32 Depth=1
	s_or_b32 exec_lo, exec_lo, s11
	s_cbranch_execnz .LBB0_294
; %bb.221:                              ;   in Loop: Header=BB0_32 Depth=1
	ds_load_b64 v[17:18], v0
	v_add_co_u32 v2, vcc_lo, v2, v130
	v_add_co_ci_u32_e32 v3, vcc_lo, v3, v131, vcc_lo
	s_mov_b32 s11, exec_lo
	s_waitcnt lgkmcnt(0)
	s_delay_alu instid0(VALU_DEP_1)
	v_cmpx_lt_u64_e64 v[17:18], v[2:3]
	s_cbranch_execz .LBB0_232
; %bb.222:                              ;   in Loop: Header=BB0_32 Depth=1
	s_mov_b32 s12, 0
	s_mov_b32 s15, 0
                                        ; implicit-def: $sgpr13
                                        ; implicit-def: $sgpr14
	s_branch .LBB0_224
.LBB0_223:                              ;   in Loop: Header=BB0_224 Depth=2
	s_or_b32 exec_lo, exec_lo, s25
	s_delay_alu instid0(SALU_CYCLE_1) | instskip(NEXT) | instid1(SALU_CYCLE_1)
	s_and_b32 s23, exec_lo, s24
	s_or_b32 s12, s23, s12
	s_and_not1_b32 s13, s13, exec_lo
	s_and_b32 s23, s14, exec_lo
	s_delay_alu instid0(SALU_CYCLE_1)
	s_or_b32 s13, s13, s23
	s_and_not1_b32 exec_lo, exec_lo, s12
	s_cbranch_execz .LBB0_230
.LBB0_224:                              ;   Parent Loop BB0_32 Depth=1
                                        ; =>  This Inner Loop Header: Depth=2
	s_add_i32 s15, s15, 1
                                        ; implicit-def: $sgpr24
	s_delay_alu instid0(SALU_CYCLE_1) | instskip(SKIP_1) | instid1(SALU_CYCLE_1)
	s_cmpk_lg_i32 s15, 0x2710
	s_cselect_b32 s23, -1, 0
	s_and_b32 vcc_lo, exec_lo, s23
	s_cbranch_vccz .LBB0_228
.LBB0_225:                              ;   in Loop: Header=BB0_224 Depth=2
	s_and_not1_b32 s14, s14, exec_lo
	s_and_b32 s25, s24, exec_lo
	s_mov_b32 s24, -1
	s_or_b32 s14, s14, s25
	s_and_saveexec_b32 s25, s23
	s_cbranch_execz .LBB0_223
; %bb.226:                              ;   in Loop: Header=BB0_224 Depth=2
	s_sleep 1
	s_cbranch_execnz .LBB0_314
; %bb.227:                              ;   in Loop: Header=BB0_224 Depth=2
	ds_load_b64 v[17:18], v0
	s_and_not1_b32 s14, s14, exec_lo
	s_waitcnt lgkmcnt(0)
	v_cmp_ge_u64_e32 vcc_lo, v[17:18], v[2:3]
	s_or_not1_b32 s24, vcc_lo, exec_lo
	s_branch .LBB0_223
.LBB0_228:                              ;   in Loop: Header=BB0_224 Depth=2
	s_cbranch_execnz .LBB0_316
; %bb.229:                              ;   in Loop: Header=BB0_224 Depth=2
	ds_load_b64 v[17:18], v0
	s_and_not1_b32 s23, s23, exec_lo
	s_mov_b32 s15, 0
	s_mov_b32 s24, -1
	s_waitcnt lgkmcnt(0)
	flat_load_b32 v17, v[17:18] glc
	s_waitcnt vmcnt(0) lgkmcnt(0)
	buffer_gl1_inv
	buffer_gl0_inv
	v_cmp_eq_u32_e32 vcc_lo, 0, v17
	s_and_b32 s25, vcc_lo, exec_lo
	s_delay_alu instid0(SALU_CYCLE_1)
	s_or_b32 s23, s23, s25
	s_branch .LBB0_225
.LBB0_230:                              ;   in Loop: Header=BB0_32 Depth=1
	s_or_b32 exec_lo, exec_lo, s12
	s_and_saveexec_b32 s12, s13
	s_delay_alu instid0(SALU_CYCLE_1)
	s_xor_b32 s12, exec_lo, s12
	s_cbranch_execz .LBB0_232
; %bb.231:                              ;   in Loop: Header=BB0_32 Depth=1
	ds_store_b32 v0, v103
	s_cbranch_execnz .LBB0_333
.LBB0_232:                              ;   in Loop: Header=BB0_32 Depth=1
	s_or_b32 exec_lo, exec_lo, s11
	;;#ASMSTART
	s_wakeup
	;;#ASMEND
.LBB0_233:                              ;   in Loop: Header=BB0_32 Depth=1
	s_or_b32 exec_lo, exec_lo, s10
.LBB0_234:                              ;   in Loop: Header=BB0_32 Depth=1
	s_and_not1_saveexec_b32 s9, s9
	s_cbranch_execz .LBB0_236
; %bb.235:                              ;   in Loop: Header=BB0_32 Depth=1
	s_waitcnt vmcnt(0) lgkmcnt(0)
	s_waitcnt_vscnt null, 0x0
	buffer_gl1_inv
	buffer_gl0_inv
	s_barrier
.LBB0_236:                              ;   in Loop: Header=BB0_32 Depth=1
	s_or_b32 exec_lo, exec_lo, s9
.LBB0_237:                              ;   in Loop: Header=BB0_32 Depth=1
	s_delay_alu instid0(SALU_CYCLE_1)
	s_or_b32 exec_lo, exec_lo, s8
	s_and_saveexec_b32 s8, s5
	s_cbranch_execz .LBB0_239
; %bb.238:                              ;   in Loop: Header=BB0_32 Depth=1
	v_add_co_u32 v48, vcc_lo, v48, 1
	v_add_co_ci_u32_e32 v49, vcc_lo, 0, v49, vcc_lo
	s_waitcnt vmcnt(0) lgkmcnt(0)
	s_waitcnt_vscnt null, 0x0
	flat_store_b64 v[36:37], v[48:49]
.LBB0_239:                              ;   in Loop: Header=BB0_32 Depth=1
	s_or_b32 exec_lo, exec_lo, s8
	v_add_co_u32 v66, vcc_lo, v66, v54
	v_add_co_ci_u32_e32 v67, vcc_lo, 0, v67, vcc_lo
	v_add_co_u32 v32, vcc_lo, v32, 1
	v_add_co_ci_u32_e32 v33, vcc_lo, 0, v33, vcc_lo
	s_delay_alu instid0(VALU_DEP_3) | instskip(SKIP_1) | instid1(VALU_DEP_1)
	v_cmp_ge_u64_e32 vcc_lo, v[66:67], v[7:8]
	v_add_co_u32 v9, s8, v9, v54
	v_add_co_ci_u32_e64 v10, s8, 0, v10, s8
	s_or_b32 s21, vcc_lo, s21
	s_delay_alu instid0(SALU_CYCLE_1)
	s_and_not1_b32 exec_lo, exec_lo, s21
	s_cbranch_execnz .LBB0_32
; %bb.240:
	s_or_b32 exec_lo, exec_lo, s21
.LBB0_241:
	s_delay_alu instid0(SALU_CYCLE_1)
	s_or_b32 exec_lo, exec_lo, s19
	s_and_saveexec_b32 s1, s18
	s_cbranch_execz .LBB0_243
; %bb.242:
	s_waitcnt vmcnt(0) lgkmcnt(0)
	flat_store_b64 v[27:28], v[48:49] offset:104
.LBB0_243:
	s_or_b32 exec_lo, exec_lo, s1
	s_and_saveexec_b32 s1, s0
	s_cbranch_execz .LBB0_245
; %bb.244:
	s_waitcnt vmcnt(0) lgkmcnt(0)
	flat_store_b64 v[34:35], v[15:16] offset:104
.LBB0_245:
	s_or_b32 exec_lo, exec_lo, s1
	s_delay_alu instid0(SALU_CYCLE_1)
	s_mov_b32 s0, exec_lo
	v_cmpx_ne_u32_e32 32, v1
	s_cbranch_execz .LBB0_324
; %bb.246:
	s_mov_b32 s1, exec_lo
	v_cmpx_ne_u32_e64 v0, v1
	s_xor_b32 s1, exec_lo, s1
	s_cbranch_execz .LBB0_322
; %bb.247:
	v_and_b32_e32 v0, 31, v31
	s_mov_b32 s2, exec_lo
	s_delay_alu instid0(VALU_DEP_1)
	v_cmpx_eq_u32_e32 0, v0
	s_cbranch_execz .LBB0_321
; %bb.248:
	s_mov_b32 s4, exec_lo
	s_mov_b32 s3, exec_lo
	v_mbcnt_lo_u32_b32 v0, s4, 0
	s_waitcnt vmcnt(0) lgkmcnt(0)
	s_waitcnt_vscnt null, 0x0
	buffer_gl1_inv
	buffer_gl0_inv
	v_cmpx_eq_u32_e32 0, v0
	s_cbranch_execz .LBB0_250
; %bb.249:
	s_bcnt1_i32_b32 s4, s4
	s_delay_alu instid0(SALU_CYCLE_1)
	v_dual_mov_b32 v5, 0 :: v_dual_mov_b32 v4, s4
	ds_add_u64 v0, v[4:5]
	s_cbranch_execnz .LBB0_282
.LBB0_250:
	s_or_b32 exec_lo, exec_lo, s3
	s_cbranch_execnz .LBB0_267
; %bb.251:
	v_ashrrev_i32_e32 v0, 31, v1
	s_mov_b32 s3, exec_lo
	s_delay_alu instid0(VALU_DEP_1) | instskip(NEXT) | instid1(VALU_DEP_1)
	v_lshrrev_b32_e32 v0, 27, v0
	v_add_nc_u32_e32 v0, v1, v0
	ds_load_b64 v[4:5], v0
	v_ashrrev_i32_e32 v0, 5, v0
	s_delay_alu instid0(VALU_DEP_1) | instskip(SKIP_1) | instid1(VALU_DEP_2)
	v_ashrrev_i32_e32 v1, 31, v0
	v_add_co_u32 v0, vcc_lo, v2, v0
	v_add_co_ci_u32_e32 v1, vcc_lo, v3, v1, vcc_lo
	s_waitcnt lgkmcnt(0)
	s_delay_alu instid0(VALU_DEP_1)
	v_cmpx_lt_u64_e64 v[4:5], v[0:1]
	s_cbranch_execz .LBB0_320
; %bb.252:
	s_mov_b32 s4, 0
	s_mov_b32 s7, 0
                                        ; implicit-def: $sgpr5
                                        ; implicit-def: $sgpr6
	s_branch .LBB0_272
.LBB0_253:
	s_trap 2
	s_sendmsg_rtn_b32 s0, sendmsg(MSG_RTN_GET_DOORBELL)
	s_mov_b32 ttmp2, m0
	s_waitcnt lgkmcnt(0)
	s_and_b32 s0, s0, 0x3ff
	s_delay_alu instid0(SALU_CYCLE_1) | instskip(NEXT) | instid1(SALU_CYCLE_1)
	s_bitset1_b32 s0, 10
	s_mov_b32 m0, s0
	s_sendmsg sendmsg(MSG_INTERRUPT)
	s_mov_b32 m0, ttmp2
.LBB0_254:                              ; =>This Inner Loop Header: Depth=1
	s_sethalt 5
	s_branch .LBB0_254
.LBB0_255:
	s_trap 2
	s_sendmsg_rtn_b32 s0, sendmsg(MSG_RTN_GET_DOORBELL)
	s_mov_b32 ttmp2, m0
	s_waitcnt lgkmcnt(0)
	s_and_b32 s0, s0, 0x3ff
	s_delay_alu instid0(SALU_CYCLE_1) | instskip(NEXT) | instid1(SALU_CYCLE_1)
	s_bitset1_b32 s0, 10
	s_mov_b32 m0, s0
	s_sendmsg sendmsg(MSG_INTERRUPT)
	s_mov_b32 m0, ttmp2
.LBB0_256:                              ; =>This Inner Loop Header: Depth=1
	s_sethalt 5
	s_branch .LBB0_256
.LBB0_257:
	s_trap 2
	s_sendmsg_rtn_b32 s0, sendmsg(MSG_RTN_GET_DOORBELL)
	s_mov_b32 ttmp2, m0
	s_waitcnt lgkmcnt(0)
	s_and_b32 s0, s0, 0x3ff
	s_delay_alu instid0(SALU_CYCLE_1) | instskip(NEXT) | instid1(SALU_CYCLE_1)
	s_bitset1_b32 s0, 10
	s_mov_b32 m0, s0
	s_sendmsg sendmsg(MSG_INTERRUPT)
	s_mov_b32 m0, ttmp2
.LBB0_258:                              ; =>This Inner Loop Header: Depth=1
	s_sethalt 5
	s_branch .LBB0_258
.LBB0_259:
	s_trap 2
	s_sendmsg_rtn_b32 s0, sendmsg(MSG_RTN_GET_DOORBELL)
	s_mov_b32 ttmp2, m0
	s_waitcnt lgkmcnt(0)
	s_and_b32 s0, s0, 0x3ff
	s_delay_alu instid0(SALU_CYCLE_1) | instskip(NEXT) | instid1(SALU_CYCLE_1)
	s_bitset1_b32 s0, 10
	s_mov_b32 m0, s0
	s_sendmsg sendmsg(MSG_INTERRUPT)
	s_mov_b32 m0, ttmp2
.LBB0_260:                              ; =>This Inner Loop Header: Depth=1
	s_sethalt 5
	s_branch .LBB0_260
.LBB0_261:
	s_trap 2
	s_sendmsg_rtn_b32 s0, sendmsg(MSG_RTN_GET_DOORBELL)
	s_mov_b32 ttmp2, m0
	s_waitcnt lgkmcnt(0)
	s_and_b32 s0, s0, 0x3ff
	s_delay_alu instid0(SALU_CYCLE_1) | instskip(NEXT) | instid1(SALU_CYCLE_1)
	s_bitset1_b32 s0, 10
	s_mov_b32 m0, s0
	s_sendmsg sendmsg(MSG_INTERRUPT)
	s_mov_b32 m0, ttmp2
.LBB0_262:                              ; =>This Inner Loop Header: Depth=1
	s_sethalt 5
	s_branch .LBB0_262
.LBB0_263:
	s_trap 2
	s_sendmsg_rtn_b32 s0, sendmsg(MSG_RTN_GET_DOORBELL)
	s_mov_b32 ttmp2, m0
	s_waitcnt lgkmcnt(0)
	s_and_b32 s0, s0, 0x3ff
	s_delay_alu instid0(SALU_CYCLE_1) | instskip(NEXT) | instid1(SALU_CYCLE_1)
	s_bitset1_b32 s0, 10
	s_mov_b32 m0, s0
	s_sendmsg sendmsg(MSG_INTERRUPT)
	s_mov_b32 m0, ttmp2
.LBB0_264:                              ; =>This Inner Loop Header: Depth=1
	s_sethalt 5
	s_branch .LBB0_264
.LBB0_265:
	s_trap 2
	s_sendmsg_rtn_b32 s0, sendmsg(MSG_RTN_GET_DOORBELL)
	s_mov_b32 ttmp2, m0
	s_waitcnt lgkmcnt(0)
	s_and_b32 s0, s0, 0x3ff
	s_delay_alu instid0(SALU_CYCLE_1) | instskip(NEXT) | instid1(SALU_CYCLE_1)
	s_bitset1_b32 s0, 10
	s_mov_b32 m0, s0
	s_sendmsg sendmsg(MSG_INTERRUPT)
	s_mov_b32 m0, ttmp2
.LBB0_266:                              ; =>This Inner Loop Header: Depth=1
	s_sethalt 5
	s_branch .LBB0_266
.LBB0_267:
	s_trap 2
	s_sendmsg_rtn_b32 s0, sendmsg(MSG_RTN_GET_DOORBELL)
	s_mov_b32 ttmp2, m0
	s_waitcnt lgkmcnt(0)
	s_and_b32 s0, s0, 0x3ff
	s_delay_alu instid0(SALU_CYCLE_1) | instskip(NEXT) | instid1(SALU_CYCLE_1)
	s_bitset1_b32 s0, 10
	s_mov_b32 m0, s0
	s_sendmsg sendmsg(MSG_INTERRUPT)
	s_mov_b32 m0, ttmp2
.LBB0_268:                              ; =>This Inner Loop Header: Depth=1
	s_sethalt 5
	s_branch .LBB0_268
.LBB0_269:
	s_trap 2
	s_sendmsg_rtn_b32 s0, sendmsg(MSG_RTN_GET_DOORBELL)
	s_mov_b32 ttmp2, m0
	s_waitcnt lgkmcnt(0)
	s_and_b32 s0, s0, 0x3ff
	s_delay_alu instid0(SALU_CYCLE_1) | instskip(NEXT) | instid1(SALU_CYCLE_1)
	s_bitset1_b32 s0, 10
	s_mov_b32 m0, s0
	s_sendmsg sendmsg(MSG_INTERRUPT)
	s_mov_b32 m0, ttmp2
.LBB0_270:                              ; =>This Inner Loop Header: Depth=1
	s_sethalt 5
	s_branch .LBB0_270
.LBB0_271:                              ;   in Loop: Header=BB0_272 Depth=1
	s_or_b32 exec_lo, exec_lo, s10
	s_delay_alu instid0(SALU_CYCLE_1) | instskip(NEXT) | instid1(SALU_CYCLE_1)
	s_and_b32 s8, exec_lo, s9
	s_or_b32 s4, s8, s4
	s_and_not1_b32 s5, s5, exec_lo
	s_and_b32 s8, s6, exec_lo
	s_delay_alu instid0(SALU_CYCLE_1)
	s_or_b32 s5, s5, s8
	s_and_not1_b32 exec_lo, exec_lo, s4
	s_cbranch_execz .LBB0_318
.LBB0_272:                              ; =>This Inner Loop Header: Depth=1
	s_add_i32 s7, s7, 1
                                        ; implicit-def: $sgpr9
	s_delay_alu instid0(SALU_CYCLE_1) | instskip(SKIP_1) | instid1(SALU_CYCLE_1)
	s_cmpk_lg_i32 s7, 0x2710
	s_cselect_b32 s8, -1, 0
	s_and_b32 vcc_lo, exec_lo, s8
	s_cbranch_vccz .LBB0_276
.LBB0_273:                              ;   in Loop: Header=BB0_272 Depth=1
	s_and_not1_b32 s6, s6, exec_lo
	s_and_b32 s10, s9, exec_lo
	s_mov_b32 s9, -1
	s_or_b32 s6, s6, s10
	s_and_saveexec_b32 s10, s8
	s_cbranch_execz .LBB0_271
; %bb.274:                              ;   in Loop: Header=BB0_272 Depth=1
	s_sleep 1
	s_cbranch_execnz .LBB0_296
; %bb.275:                              ;   in Loop: Header=BB0_272 Depth=1
	ds_load_b64 v[2:3], v0
	s_and_not1_b32 s6, s6, exec_lo
	s_waitcnt lgkmcnt(0)
	v_cmp_ge_u64_e32 vcc_lo, v[2:3], v[0:1]
	s_or_not1_b32 s9, vcc_lo, exec_lo
	s_branch .LBB0_271
.LBB0_276:                              ;   in Loop: Header=BB0_272 Depth=1
	s_cbranch_execnz .LBB0_302
; %bb.277:                              ;   in Loop: Header=BB0_272 Depth=1
	ds_load_b64 v[2:3], v0
	s_and_not1_b32 s8, s8, exec_lo
	s_mov_b32 s7, 0
	s_mov_b32 s9, -1
	s_waitcnt lgkmcnt(0)
	flat_load_b32 v2, v[2:3] glc
	s_waitcnt vmcnt(0) lgkmcnt(0)
	buffer_gl1_inv
	buffer_gl0_inv
	v_cmp_eq_u32_e32 vcc_lo, 0, v2
	s_and_b32 s10, vcc_lo, exec_lo
	s_delay_alu instid0(SALU_CYCLE_1)
	s_or_b32 s8, s8, s10
	s_branch .LBB0_273
.LBB0_278:
	s_trap 2
	s_sendmsg_rtn_b32 s0, sendmsg(MSG_RTN_GET_DOORBELL)
	s_mov_b32 ttmp2, m0
	s_waitcnt lgkmcnt(0)
	s_and_b32 s0, s0, 0x3ff
	s_delay_alu instid0(SALU_CYCLE_1) | instskip(NEXT) | instid1(SALU_CYCLE_1)
	s_bitset1_b32 s0, 10
	s_mov_b32 m0, s0
	s_sendmsg sendmsg(MSG_INTERRUPT)
	s_mov_b32 m0, ttmp2
.LBB0_279:                              ; =>This Inner Loop Header: Depth=1
	s_sethalt 5
	s_branch .LBB0_279
.LBB0_280:
	s_trap 2
	s_sendmsg_rtn_b32 s0, sendmsg(MSG_RTN_GET_DOORBELL)
	s_mov_b32 ttmp2, m0
	s_waitcnt lgkmcnt(0)
	s_and_b32 s0, s0, 0x3ff
	s_delay_alu instid0(SALU_CYCLE_1) | instskip(NEXT) | instid1(SALU_CYCLE_1)
	s_bitset1_b32 s0, 10
	s_mov_b32 m0, s0
	s_sendmsg sendmsg(MSG_INTERRUPT)
	s_mov_b32 m0, ttmp2
.LBB0_281:                              ; =>This Inner Loop Header: Depth=1
	s_sethalt 5
	s_branch .LBB0_281
.LBB0_282:
	s_trap 2
	s_sendmsg_rtn_b32 s0, sendmsg(MSG_RTN_GET_DOORBELL)
	s_mov_b32 ttmp2, m0
	s_waitcnt lgkmcnt(0)
	s_and_b32 s0, s0, 0x3ff
	s_delay_alu instid0(SALU_CYCLE_1) | instskip(NEXT) | instid1(SALU_CYCLE_1)
	s_bitset1_b32 s0, 10
	s_mov_b32 m0, s0
	s_sendmsg sendmsg(MSG_INTERRUPT)
	s_mov_b32 m0, ttmp2
.LBB0_283:                              ; =>This Inner Loop Header: Depth=1
	s_sethalt 5
	s_branch .LBB0_283
.LBB0_284:
	s_trap 2
	s_sendmsg_rtn_b32 s0, sendmsg(MSG_RTN_GET_DOORBELL)
	s_mov_b32 ttmp2, m0
	s_waitcnt lgkmcnt(0)
	s_and_b32 s0, s0, 0x3ff
	s_delay_alu instid0(SALU_CYCLE_1) | instskip(NEXT) | instid1(SALU_CYCLE_1)
	s_bitset1_b32 s0, 10
	s_mov_b32 m0, s0
	s_sendmsg sendmsg(MSG_INTERRUPT)
	s_mov_b32 m0, ttmp2
.LBB0_285:                              ; =>This Inner Loop Header: Depth=1
	s_sethalt 5
	s_branch .LBB0_285
.LBB0_286:
	s_trap 2
	s_sendmsg_rtn_b32 s0, sendmsg(MSG_RTN_GET_DOORBELL)
	s_mov_b32 ttmp2, m0
	s_waitcnt lgkmcnt(0)
	s_and_b32 s0, s0, 0x3ff
	s_delay_alu instid0(SALU_CYCLE_1) | instskip(NEXT) | instid1(SALU_CYCLE_1)
	s_bitset1_b32 s0, 10
	s_mov_b32 m0, s0
	s_sendmsg sendmsg(MSG_INTERRUPT)
	s_mov_b32 m0, ttmp2
.LBB0_287:                              ; =>This Inner Loop Header: Depth=1
	s_sethalt 5
	s_branch .LBB0_287
.LBB0_288:
	s_trap 2
	s_sendmsg_rtn_b32 s0, sendmsg(MSG_RTN_GET_DOORBELL)
	s_mov_b32 ttmp2, m0
	s_waitcnt lgkmcnt(0)
	s_and_b32 s0, s0, 0x3ff
	s_delay_alu instid0(SALU_CYCLE_1) | instskip(NEXT) | instid1(SALU_CYCLE_1)
	s_bitset1_b32 s0, 10
	s_mov_b32 m0, s0
	s_sendmsg sendmsg(MSG_INTERRUPT)
	s_mov_b32 m0, ttmp2
.LBB0_289:                              ; =>This Inner Loop Header: Depth=1
	s_sethalt 5
	s_branch .LBB0_289
.LBB0_290:
	s_trap 2
	s_sendmsg_rtn_b32 s0, sendmsg(MSG_RTN_GET_DOORBELL)
	s_mov_b32 ttmp2, m0
	s_waitcnt lgkmcnt(0)
	s_and_b32 s0, s0, 0x3ff
	s_delay_alu instid0(SALU_CYCLE_1) | instskip(NEXT) | instid1(SALU_CYCLE_1)
	s_bitset1_b32 s0, 10
	s_mov_b32 m0, s0
	s_sendmsg sendmsg(MSG_INTERRUPT)
	s_mov_b32 m0, ttmp2
.LBB0_291:                              ; =>This Inner Loop Header: Depth=1
	s_sethalt 5
	s_branch .LBB0_291
.LBB0_292:
	s_trap 2
	s_sendmsg_rtn_b32 s0, sendmsg(MSG_RTN_GET_DOORBELL)
	s_mov_b32 ttmp2, m0
	s_waitcnt lgkmcnt(0)
	s_and_b32 s0, s0, 0x3ff
	s_delay_alu instid0(SALU_CYCLE_1) | instskip(NEXT) | instid1(SALU_CYCLE_1)
	s_bitset1_b32 s0, 10
	s_mov_b32 m0, s0
	s_sendmsg sendmsg(MSG_INTERRUPT)
	s_mov_b32 m0, ttmp2
.LBB0_293:                              ; =>This Inner Loop Header: Depth=1
	s_sethalt 5
	s_branch .LBB0_293
.LBB0_294:
	s_trap 2
	s_sendmsg_rtn_b32 s0, sendmsg(MSG_RTN_GET_DOORBELL)
	s_mov_b32 ttmp2, m0
	s_waitcnt lgkmcnt(0)
	s_and_b32 s0, s0, 0x3ff
	s_delay_alu instid0(SALU_CYCLE_1) | instskip(NEXT) | instid1(SALU_CYCLE_1)
	s_bitset1_b32 s0, 10
	s_mov_b32 m0, s0
	s_sendmsg sendmsg(MSG_INTERRUPT)
	s_mov_b32 m0, ttmp2
.LBB0_295:                              ; =>This Inner Loop Header: Depth=1
	s_sethalt 5
	s_branch .LBB0_295
.LBB0_296:
	s_trap 2
	s_sendmsg_rtn_b32 s0, sendmsg(MSG_RTN_GET_DOORBELL)
	s_mov_b32 ttmp2, m0
	s_waitcnt lgkmcnt(0)
	s_and_b32 s0, s0, 0x3ff
	s_delay_alu instid0(SALU_CYCLE_1) | instskip(NEXT) | instid1(SALU_CYCLE_1)
	s_bitset1_b32 s0, 10
	s_mov_b32 m0, s0
	s_sendmsg sendmsg(MSG_INTERRUPT)
	s_mov_b32 m0, ttmp2
.LBB0_297:                              ; =>This Inner Loop Header: Depth=1
	s_sethalt 5
	s_branch .LBB0_297
.LBB0_298:
	s_trap 2
	s_sendmsg_rtn_b32 s0, sendmsg(MSG_RTN_GET_DOORBELL)
	s_mov_b32 ttmp2, m0
	s_waitcnt lgkmcnt(0)
	s_and_b32 s0, s0, 0x3ff
	s_delay_alu instid0(SALU_CYCLE_1) | instskip(NEXT) | instid1(SALU_CYCLE_1)
	s_bitset1_b32 s0, 10
	s_mov_b32 m0, s0
	s_sendmsg sendmsg(MSG_INTERRUPT)
	s_mov_b32 m0, ttmp2
.LBB0_299:                              ; =>This Inner Loop Header: Depth=1
	s_sethalt 5
	s_branch .LBB0_299
.LBB0_300:
	s_trap 2
	s_sendmsg_rtn_b32 s0, sendmsg(MSG_RTN_GET_DOORBELL)
	s_mov_b32 ttmp2, m0
	s_waitcnt lgkmcnt(0)
	s_and_b32 s0, s0, 0x3ff
	s_delay_alu instid0(SALU_CYCLE_1) | instskip(NEXT) | instid1(SALU_CYCLE_1)
	s_bitset1_b32 s0, 10
	s_mov_b32 m0, s0
	s_sendmsg sendmsg(MSG_INTERRUPT)
	s_mov_b32 m0, ttmp2
.LBB0_301:                              ; =>This Inner Loop Header: Depth=1
	s_sethalt 5
	s_branch .LBB0_301
.LBB0_302:
	s_trap 2
	s_sendmsg_rtn_b32 s0, sendmsg(MSG_RTN_GET_DOORBELL)
	s_mov_b32 ttmp2, m0
	s_waitcnt lgkmcnt(0)
	s_and_b32 s0, s0, 0x3ff
	s_delay_alu instid0(SALU_CYCLE_1) | instskip(NEXT) | instid1(SALU_CYCLE_1)
	s_bitset1_b32 s0, 10
	s_mov_b32 m0, s0
	s_sendmsg sendmsg(MSG_INTERRUPT)
	s_mov_b32 m0, ttmp2
.LBB0_303:                              ; =>This Inner Loop Header: Depth=1
	s_sethalt 5
	s_branch .LBB0_303
.LBB0_304:
	s_trap 2
	s_sendmsg_rtn_b32 s0, sendmsg(MSG_RTN_GET_DOORBELL)
	s_mov_b32 ttmp2, m0
	s_waitcnt lgkmcnt(0)
	s_and_b32 s0, s0, 0x3ff
	s_delay_alu instid0(SALU_CYCLE_1) | instskip(NEXT) | instid1(SALU_CYCLE_1)
	s_bitset1_b32 s0, 10
	s_mov_b32 m0, s0
	s_sendmsg sendmsg(MSG_INTERRUPT)
	s_mov_b32 m0, ttmp2
.LBB0_305:                              ; =>This Inner Loop Header: Depth=1
	s_sethalt 5
	s_branch .LBB0_305
.LBB0_306:
	s_trap 2
	s_sendmsg_rtn_b32 s0, sendmsg(MSG_RTN_GET_DOORBELL)
	s_mov_b32 ttmp2, m0
	s_waitcnt lgkmcnt(0)
	s_and_b32 s0, s0, 0x3ff
	s_delay_alu instid0(SALU_CYCLE_1) | instskip(NEXT) | instid1(SALU_CYCLE_1)
	s_bitset1_b32 s0, 10
	s_mov_b32 m0, s0
	s_sendmsg sendmsg(MSG_INTERRUPT)
	s_mov_b32 m0, ttmp2
.LBB0_307:                              ; =>This Inner Loop Header: Depth=1
	s_sethalt 5
	s_branch .LBB0_307
.LBB0_308:
	s_trap 2
	s_sendmsg_rtn_b32 s0, sendmsg(MSG_RTN_GET_DOORBELL)
	s_mov_b32 ttmp2, m0
	s_waitcnt lgkmcnt(0)
	s_and_b32 s0, s0, 0x3ff
	s_delay_alu instid0(SALU_CYCLE_1) | instskip(NEXT) | instid1(SALU_CYCLE_1)
	s_bitset1_b32 s0, 10
	s_mov_b32 m0, s0
	s_sendmsg sendmsg(MSG_INTERRUPT)
	s_mov_b32 m0, ttmp2
.LBB0_309:                              ; =>This Inner Loop Header: Depth=1
	s_sethalt 5
	s_branch .LBB0_309
.LBB0_310:
	s_trap 2
	s_sendmsg_rtn_b32 s0, sendmsg(MSG_RTN_GET_DOORBELL)
	s_mov_b32 ttmp2, m0
	s_waitcnt lgkmcnt(0)
	s_and_b32 s0, s0, 0x3ff
	s_delay_alu instid0(SALU_CYCLE_1) | instskip(NEXT) | instid1(SALU_CYCLE_1)
	s_bitset1_b32 s0, 10
	s_mov_b32 m0, s0
	s_sendmsg sendmsg(MSG_INTERRUPT)
	s_mov_b32 m0, ttmp2
.LBB0_311:                              ; =>This Inner Loop Header: Depth=1
	s_sethalt 5
	s_branch .LBB0_311
.LBB0_312:
	s_trap 2
	s_sendmsg_rtn_b32 s0, sendmsg(MSG_RTN_GET_DOORBELL)
	s_mov_b32 ttmp2, m0
	s_waitcnt lgkmcnt(0)
	s_and_b32 s0, s0, 0x3ff
	s_delay_alu instid0(SALU_CYCLE_1) | instskip(NEXT) | instid1(SALU_CYCLE_1)
	s_bitset1_b32 s0, 10
	s_mov_b32 m0, s0
	s_sendmsg sendmsg(MSG_INTERRUPT)
	s_mov_b32 m0, ttmp2
.LBB0_313:                              ; =>This Inner Loop Header: Depth=1
	s_sethalt 5
	s_branch .LBB0_313
.LBB0_314:
	s_trap 2
	s_sendmsg_rtn_b32 s0, sendmsg(MSG_RTN_GET_DOORBELL)
	s_mov_b32 ttmp2, m0
	s_waitcnt lgkmcnt(0)
	s_and_b32 s0, s0, 0x3ff
	s_delay_alu instid0(SALU_CYCLE_1) | instskip(NEXT) | instid1(SALU_CYCLE_1)
	s_bitset1_b32 s0, 10
	s_mov_b32 m0, s0
	s_sendmsg sendmsg(MSG_INTERRUPT)
	s_mov_b32 m0, ttmp2
.LBB0_315:                              ; =>This Inner Loop Header: Depth=1
	s_sethalt 5
	s_branch .LBB0_315
.LBB0_316:
	s_trap 2
	s_sendmsg_rtn_b32 s0, sendmsg(MSG_RTN_GET_DOORBELL)
	s_mov_b32 ttmp2, m0
	s_waitcnt lgkmcnt(0)
	s_and_b32 s0, s0, 0x3ff
	s_delay_alu instid0(SALU_CYCLE_1) | instskip(NEXT) | instid1(SALU_CYCLE_1)
	s_bitset1_b32 s0, 10
	s_mov_b32 m0, s0
	s_sendmsg sendmsg(MSG_INTERRUPT)
	s_mov_b32 m0, ttmp2
.LBB0_317:                              ; =>This Inner Loop Header: Depth=1
	s_sethalt 5
	s_branch .LBB0_317
.LBB0_318:
	s_or_b32 exec_lo, exec_lo, s4
	s_and_saveexec_b32 s4, s5
	s_delay_alu instid0(SALU_CYCLE_1)
	s_xor_b32 s4, exec_lo, s4
	s_cbranch_execz .LBB0_320
; %bb.319:
	v_mov_b32_e32 v0, 1
	ds_store_b32 v0, v0
	s_cbranch_execnz .LBB0_327
.LBB0_320:
	s_or_b32 exec_lo, exec_lo, s3
	;;#ASMSTART
	s_wakeup
	;;#ASMEND
.LBB0_321:
	s_or_b32 exec_lo, exec_lo, s2
.LBB0_322:
	s_and_not1_saveexec_b32 s1, s1
	s_cbranch_execz .LBB0_324
; %bb.323:
	s_waitcnt vmcnt(0) lgkmcnt(0)
	s_waitcnt_vscnt null, 0x0
	buffer_gl1_inv
	buffer_gl0_inv
	s_barrier
.LBB0_324:
	s_or_b32 exec_lo, exec_lo, s0
	s_waitcnt vmcnt(0) lgkmcnt(0)
	s_setpc_b64 s[30:31]
.LBB0_325:
	s_trap 2
	s_sendmsg_rtn_b32 s0, sendmsg(MSG_RTN_GET_DOORBELL)
	s_mov_b32 ttmp2, m0
	s_waitcnt lgkmcnt(0)
	s_and_b32 s0, s0, 0x3ff
	s_delay_alu instid0(SALU_CYCLE_1) | instskip(NEXT) | instid1(SALU_CYCLE_1)
	s_bitset1_b32 s0, 10
	s_mov_b32 m0, s0
	s_sendmsg sendmsg(MSG_INTERRUPT)
	s_mov_b32 m0, ttmp2
.LBB0_326:                              ; =>This Inner Loop Header: Depth=1
	s_sethalt 5
	s_branch .LBB0_326
.LBB0_327:
	s_trap 2
	s_sendmsg_rtn_b32 s0, sendmsg(MSG_RTN_GET_DOORBELL)
	s_mov_b32 ttmp2, m0
	s_waitcnt lgkmcnt(0)
	s_and_b32 s0, s0, 0x3ff
	s_delay_alu instid0(SALU_CYCLE_1) | instskip(NEXT) | instid1(SALU_CYCLE_1)
	s_bitset1_b32 s0, 10
	s_mov_b32 m0, s0
	s_sendmsg sendmsg(MSG_INTERRUPT)
	s_mov_b32 m0, ttmp2
.LBB0_328:                              ; =>This Inner Loop Header: Depth=1
	s_sethalt 5
	s_branch .LBB0_328
.LBB0_329:
	s_trap 2
	s_sendmsg_rtn_b32 s0, sendmsg(MSG_RTN_GET_DOORBELL)
	s_mov_b32 ttmp2, m0
	s_waitcnt lgkmcnt(0)
	s_and_b32 s0, s0, 0x3ff
	s_delay_alu instid0(SALU_CYCLE_1) | instskip(NEXT) | instid1(SALU_CYCLE_1)
	s_bitset1_b32 s0, 10
	s_mov_b32 m0, s0
	s_sendmsg sendmsg(MSG_INTERRUPT)
	s_mov_b32 m0, ttmp2
.LBB0_330:                              ; =>This Inner Loop Header: Depth=1
	s_sethalt 5
	s_branch .LBB0_330
.LBB0_331:
	s_trap 2
	s_sendmsg_rtn_b32 s0, sendmsg(MSG_RTN_GET_DOORBELL)
	s_mov_b32 ttmp2, m0
	s_waitcnt lgkmcnt(0)
	s_and_b32 s0, s0, 0x3ff
	s_delay_alu instid0(SALU_CYCLE_1) | instskip(NEXT) | instid1(SALU_CYCLE_1)
	s_bitset1_b32 s0, 10
	s_mov_b32 m0, s0
	s_sendmsg sendmsg(MSG_INTERRUPT)
	s_mov_b32 m0, ttmp2
.LBB0_332:                              ; =>This Inner Loop Header: Depth=1
	s_sethalt 5
	s_branch .LBB0_332
.LBB0_333:
	s_trap 2
	s_sendmsg_rtn_b32 s0, sendmsg(MSG_RTN_GET_DOORBELL)
	s_mov_b32 ttmp2, m0
	s_waitcnt lgkmcnt(0)
	s_and_b32 s0, s0, 0x3ff
	s_delay_alu instid0(SALU_CYCLE_1) | instskip(NEXT) | instid1(SALU_CYCLE_1)
	s_bitset1_b32 s0, 10
	s_mov_b32 m0, s0
	s_sendmsg sendmsg(MSG_INTERRUPT)
	s_mov_b32 m0, ttmp2
.LBB0_334:                              ; =>This Inner Loop Header: Depth=1
	s_sethalt 5
	s_branch .LBB0_334
.Lfunc_end0:
	.size	_ZN12_GLOBAL__N_17runRingIh14FuncSumPostDivIhE7ProtoLLLi0ELi1ELi0EEEviiP15ncclDevWorkColl, .Lfunc_end0-_ZN12_GLOBAL__N_17runRingIh14FuncSumPostDivIhE7ProtoLLLi0ELi1ELi0EEEviiP15ncclDevWorkColl
                                        ; -- End function
	.section	.AMDGPU.csdata,"",@progbits
; Function info:
; codeLenInByte = 10928
; NumSgprs: 34
; NumVgprs: 165
; ScratchSize: 0
; MemoryBound: 0
	.text
	.p2align	2                               ; -- Begin function _Z53ncclDevFunc_ReduceScatter_RING_LL_SumPostDiv_u8_0_0_1v
	.type	_Z53ncclDevFunc_ReduceScatter_RING_LL_SumPostDiv_u8_0_0_1v,@function
_Z53ncclDevFunc_ReduceScatter_RING_LL_SumPostDiv_u8_0_0_1v: ; @_Z53ncclDevFunc_ReduceScatter_RING_LL_SumPostDiv_u8_0_0_1v
; %bb.0:
	s_waitcnt vmcnt(0) expcnt(0) lgkmcnt(0)
	s_mov_b32 s0, s33
	s_mov_b32 s33, s32
	s_or_saveexec_b32 s1, -1
	scratch_store_b32 off, v40, s33         ; 4-byte Folded Spill
	s_mov_b32 exec_lo, s1
	v_writelane_b32 v40, s0, 6
	s_add_i32 s32, s32, 16
	v_writelane_b32 v40, s34, 0
	v_writelane_b32 v40, s35, 1
	;; [unrolled: 1-line block ×6, first 2 shown]
	s_cbranch_execnz .LBB1_7
; %bb.1:
	ds_load_b32 v0, v0
	v_and_b32_e32 v165, 0x3ff, v31
	s_mov_b32 s0, exec_lo
	s_waitcnt lgkmcnt(0)
	s_delay_alu instid0(VALU_DEP_1)
	v_cmpx_lt_i32_e64 v165, v0
	s_cbranch_execz .LBB1_9
; %bb.2:
	s_load_b32 s1, s[8:9], 0x0
	v_mov_b32_e32 v1, 0
	s_waitcnt lgkmcnt(0)
	s_cmp_lt_u32 s12, s1
	s_cselect_b32 s1, 12, 18
	s_delay_alu instid0(SALU_CYCLE_1)
	s_add_u32 s2, s8, s1
	s_addc_u32 s3, s9, 0
	s_mov_b32 s1, 0
	global_load_u16 v1, v1, s[2:3]
	s_cbranch_execnz .LBB1_24
; %bb.3:
	ds_load_b32 v2, v0
	v_mov_b32_e32 v3, v165
                                        ; implicit-def: $vgpr4
	s_waitcnt vmcnt(0) lgkmcnt(0)
	v_mul_lo_u32 v2, v2, v1
	s_branch .LBB1_5
	.p2align	6
.LBB1_4:                                ;   in Loop: Header=BB1_5 Depth=1
	s_or_b32 exec_lo, exec_lo, s2
	v_add_nc_u32_e32 v3, v3, v1
	v_add_nc_u32_e32 v4, v4, v2
	s_delay_alu instid0(VALU_DEP_2) | instskip(SKIP_1) | instid1(SALU_CYCLE_1)
	v_cmp_ge_i32_e32 vcc_lo, v3, v0
	s_or_b32 s1, vcc_lo, s1
	s_and_not1_b32 exec_lo, exec_lo, s1
	s_cbranch_execz .LBB1_9
.LBB1_5:                                ; =>This Inner Loop Header: Depth=1
	ds_load_b32 v5, v4
	s_mov_b32 s2, exec_lo
	s_waitcnt lgkmcnt(0)
	v_and_b32_e32 v5, 0x1000000, v5
	s_delay_alu instid0(VALU_DEP_1)
	v_cmpx_ne_u32_e32 0, v5
	s_cbranch_execz .LBB1_4
; %bb.6:                                ;   in Loop: Header=BB1_5 Depth=1
	ds_load_b64 v[5:6], v4 offset:104
	s_waitcnt lgkmcnt(0)
	flat_load_b64 v[5:6], v[5:6]
	s_waitcnt vmcnt(0) lgkmcnt(0)
	ds_store_b64 v4, v[5:6] offset:104
	s_branch .LBB1_4
.LBB1_7:
	s_trap 2
	s_sendmsg_rtn_b32 s0, sendmsg(MSG_RTN_GET_DOORBELL)
	s_mov_b32 ttmp2, m0
	s_waitcnt lgkmcnt(0)
	s_and_b32 s0, s0, 0x3ff
	s_delay_alu instid0(SALU_CYCLE_1) | instskip(NEXT) | instid1(SALU_CYCLE_1)
	s_bitset1_b32 s0, 10
	s_mov_b32 m0, s0
	s_sendmsg sendmsg(MSG_INTERRUPT)
	s_mov_b32 m0, ttmp2
.LBB1_8:                                ; =>This Inner Loop Header: Depth=1
	s_sethalt 5
	s_branch .LBB1_8
.LBB1_9:
	s_or_b32 exec_lo, exec_lo, s0
	s_waitcnt lgkmcnt(0)
	s_waitcnt_vscnt null, 0x0
	s_barrier
	buffer_gl0_inv
	s_cbranch_execnz .LBB1_22
; %bb.10:
	ds_load_b32 v0, v0
	s_waitcnt lgkmcnt(0)
	v_cmp_gt_i32_e32 vcc_lo, 1, v0
	s_cbranch_vccnz .LBB1_21
; %bb.11:
	s_mov_b32 s36, 0
	s_mov_b64 s[34:35], src_shared_base
.LBB1_12:                               ; =>This Inner Loop Header: Depth=1
	s_cbranch_execnz .LBB1_26
; %bb.13:                               ;   in Loop: Header=BB1_12 Depth=1
	ds_load_b32 v0, v0
	s_cmp_eq_u32 s36, 0
	s_cbranch_scc1 .LBB1_17
; %bb.14:                               ;   in Loop: Header=BB1_12 Depth=1
	s_cbranch_execnz .LBB1_30
; %bb.15:                               ;   in Loop: Header=BB1_12 Depth=1
	s_waitcnt lgkmcnt(0)
	ds_load_b32 v1, v0
	s_waitcnt lgkmcnt(0)
	v_xor_b32_e32 v1, v1, v0
	s_delay_alu instid0(VALU_DEP_1) | instskip(NEXT) | instid1(VALU_DEP_1)
	v_and_b32_e32 v1, 0xff0000, v1
	v_cmp_eq_u32_e32 vcc_lo, 0, v1
	s_cbranch_vccnz .LBB1_17
; %bb.16:                               ;   in Loop: Header=BB1_12 Depth=1
	s_waitcnt_vscnt null, 0x0
	s_barrier
	buffer_gl0_inv
	ds_load_b32 v0, v0
.LBB1_17:                               ;   in Loop: Header=BB1_12 Depth=1
	s_waitcnt lgkmcnt(0)
	v_lshrrev_b32_e32 v0, 11, v0
	s_mov_b32 s37, exec_lo
	s_delay_alu instid0(VALU_DEP_1) | instskip(NEXT) | instid1(VALU_DEP_1)
	v_and_b32_e32 v1, 0x1fe0, v0
	v_cmpx_lt_u32_e64 v165, v1
	s_cbranch_execz .LBB1_19
; %bb.18:                               ;   in Loop: Header=BB1_12 Depth=1
	v_dual_mov_b32 v0, v165 :: v_dual_mov_b32 v3, s35
	s_getpc_b64 s[0:1]
	s_add_u32 s0, s0, _ZN12_GLOBAL__N_17runRingIh14FuncSumPostDivIhE7ProtoLLLi0ELi1ELi0EEEviiP15ncclDevWorkColl@rel32@lo+4
	s_addc_u32 s1, s1, _ZN12_GLOBAL__N_17runRingIh14FuncSumPostDivIhE7ProtoLLLi0ELi1ELi0EEEviiP15ncclDevWorkColl@rel32@hi+12
	s_mov_b64 s[28:29], s[8:9]
	s_mov_b32 s34, s12
	s_swappc_b64 s[30:31], s[0:1]
	s_mov_b32 s12, s34
	s_mov_b64 s[8:9], s[28:29]
.LBB1_19:                               ;   in Loop: Header=BB1_12 Depth=1
	s_or_b32 exec_lo, exec_lo, s37
	s_cbranch_execnz .LBB1_28
; %bb.20:                               ;   in Loop: Header=BB1_12 Depth=1
	ds_load_b32 v0, v0
	s_add_i32 s36, s36, 1
	s_waitcnt lgkmcnt(0)
	v_cmp_lt_i32_e32 vcc_lo, s36, v0
	s_cbranch_vccnz .LBB1_12
.LBB1_21:
	v_readlane_b32 s30, v40, 4
	v_readlane_b32 s31, v40, 5
	;; [unrolled: 1-line block ×7, first 2 shown]
	s_or_saveexec_b32 s1, -1
	scratch_load_b32 v40, off, s33          ; 4-byte Folded Reload
	s_mov_b32 exec_lo, s1
	s_add_i32 s32, s32, -16
	s_mov_b32 s33, s0
	s_waitcnt vmcnt(0)
	s_setpc_b64 s[30:31]
.LBB1_22:
	s_trap 2
	s_sendmsg_rtn_b32 s0, sendmsg(MSG_RTN_GET_DOORBELL)
	s_mov_b32 ttmp2, m0
	s_waitcnt lgkmcnt(0)
	s_and_b32 s0, s0, 0x3ff
	s_delay_alu instid0(SALU_CYCLE_1) | instskip(NEXT) | instid1(SALU_CYCLE_1)
	s_bitset1_b32 s0, 10
	s_mov_b32 m0, s0
	s_sendmsg sendmsg(MSG_INTERRUPT)
	s_mov_b32 m0, ttmp2
.LBB1_23:                               ; =>This Inner Loop Header: Depth=1
	s_sethalt 5
	s_branch .LBB1_23
.LBB1_24:
	s_trap 2
	s_sendmsg_rtn_b32 s0, sendmsg(MSG_RTN_GET_DOORBELL)
	s_mov_b32 ttmp2, m0
	s_waitcnt lgkmcnt(0)
	s_and_b32 s0, s0, 0x3ff
	s_delay_alu instid0(SALU_CYCLE_1) | instskip(NEXT) | instid1(SALU_CYCLE_1)
	s_bitset1_b32 s0, 10
	s_mov_b32 m0, s0
	s_sendmsg sendmsg(MSG_INTERRUPT)
	s_mov_b32 m0, ttmp2
.LBB1_25:                               ; =>This Inner Loop Header: Depth=1
	s_sethalt 5
	s_branch .LBB1_25
.LBB1_26:
	s_trap 2
	s_sendmsg_rtn_b32 s0, sendmsg(MSG_RTN_GET_DOORBELL)
	s_mov_b32 ttmp2, m0
	s_waitcnt lgkmcnt(0)
	s_and_b32 s0, s0, 0x3ff
	s_delay_alu instid0(SALU_CYCLE_1) | instskip(NEXT) | instid1(SALU_CYCLE_1)
	s_bitset1_b32 s0, 10
	s_mov_b32 m0, s0
	s_sendmsg sendmsg(MSG_INTERRUPT)
	s_mov_b32 m0, ttmp2
.LBB1_27:                               ; =>This Inner Loop Header: Depth=1
	s_sethalt 5
	s_branch .LBB1_27
.LBB1_28:
	s_trap 2
	s_sendmsg_rtn_b32 s0, sendmsg(MSG_RTN_GET_DOORBELL)
	s_mov_b32 ttmp2, m0
	s_waitcnt lgkmcnt(0)
	s_and_b32 s0, s0, 0x3ff
	s_delay_alu instid0(SALU_CYCLE_1) | instskip(NEXT) | instid1(SALU_CYCLE_1)
	s_bitset1_b32 s0, 10
	s_mov_b32 m0, s0
	s_sendmsg sendmsg(MSG_INTERRUPT)
	s_mov_b32 m0, ttmp2
.LBB1_29:                               ; =>This Inner Loop Header: Depth=1
	s_sethalt 5
	s_branch .LBB1_29
.LBB1_30:
	s_trap 2
	s_sendmsg_rtn_b32 s0, sendmsg(MSG_RTN_GET_DOORBELL)
	s_mov_b32 ttmp2, m0
	s_waitcnt lgkmcnt(0)
	s_and_b32 s0, s0, 0x3ff
	s_delay_alu instid0(SALU_CYCLE_1) | instskip(NEXT) | instid1(SALU_CYCLE_1)
	s_bitset1_b32 s0, 10
	s_mov_b32 m0, s0
	s_sendmsg sendmsg(MSG_INTERRUPT)
	s_mov_b32 m0, ttmp2
.LBB1_31:                               ; =>This Inner Loop Header: Depth=1
	s_sethalt 5
	s_branch .LBB1_31
.Lfunc_end1:
	.size	_Z53ncclDevFunc_ReduceScatter_RING_LL_SumPostDiv_u8_0_0_1v, .Lfunc_end1-_Z53ncclDevFunc_ReduceScatter_RING_LL_SumPostDiv_u8_0_0_1v
                                        ; -- End function
	.section	.AMDGPU.csdata,"",@progbits
; Function info:
; codeLenInByte = 976
; NumSgprs: 40
; NumVgprs: 166
; ScratchSize: 16
; MemoryBound: 0
	.text
	.p2align	2                               ; -- Begin function _ZN12_GLOBAL__N_17runRingIh14FuncSumPostDivIhE7ProtoLLLi0ELi2ELi0EEEviiP15ncclDevWorkColl
	.type	_ZN12_GLOBAL__N_17runRingIh14FuncSumPostDivIhE7ProtoLLLi0ELi2ELi0EEEviiP15ncclDevWorkColl,@function
_ZN12_GLOBAL__N_17runRingIh14FuncSumPostDivIhE7ProtoLLLi0ELi2ELi0EEEviiP15ncclDevWorkColl: ; @_ZN12_GLOBAL__N_17runRingIh14FuncSumPostDivIhE7ProtoLLLi0ELi2ELi0EEEviiP15ncclDevWorkColl
; %bb.0:
	s_waitcnt vmcnt(0) expcnt(0) lgkmcnt(0)
	s_cbranch_execnz .LBB2_15
; %bb.1:
	v_mov_b32_e32 v4, v0
	s_clause 0x2
	flat_load_b32 v0, v[2:3]
	flat_load_b128 v[5:8], v[2:3] offset:72
	flat_load_b64 v[19:20], v[2:3] offset:88
	s_mov_b32 s0, exec_lo
                                        ; implicit-def: $vgpr54_vgpr55
                                        ; implicit-def: $vgpr25_vgpr26
	s_waitcnt vmcnt(2) lgkmcnt(2)
	v_and_b32_e32 v11, 0xff, v0
	v_bfe_u32 v10, v0, 8, 8
	s_delay_alu instid0(VALU_DEP_2) | instskip(SKIP_3) | instid1(VALU_DEP_1)
	v_not_b32_e32 v0, v11
	ds_load_b32 v9, v0
	ds_load_b64 v[23:24], v0
	v_add_nc_u32_e32 v12, v10, v0
	v_ashrrev_i32_e32 v13, 31, v12
	s_waitcnt vmcnt(1) lgkmcnt(3)
	v_mul_lo_u32 v14, v8, v12
	v_mad_u64_u32 v[17:18], null, v7, v12, 0
	s_delay_alu instid0(VALU_DEP_3) | instskip(NEXT) | instid1(VALU_DEP_1)
	v_mul_lo_u32 v12, v7, v13
	v_add3_u32 v18, v18, v12, v14
	s_waitcnt lgkmcnt(1)
	v_readfirstlane_b32 s16, v9
	v_cmpx_ne_u32_e64 v11, v9
	s_xor_b32 s0, exec_lo, s0
	s_cbranch_execz .LBB2_7
; %bb.2:
	s_mov_b32 s1, exec_lo
                                        ; implicit-def: $vgpr54_vgpr55
                                        ; implicit-def: $vgpr25_vgpr26
	v_cmpx_ne_u32_e64 v10, v9
	s_xor_b32 s1, exec_lo, s1
	s_cbranch_execz .LBB2_4
; %bb.3:
	flat_load_b64 v[10:11], v[2:3] offset:96
	v_add_nc_u32_e32 v0, v9, v0
	s_delay_alu instid0(VALU_DEP_1) | instskip(SKIP_2) | instid1(VALU_DEP_3)
	v_ashrrev_i32_e32 v9, 31, v0
	v_mul_lo_u32 v12, v8, v0
	v_mad_u64_u32 v[25:26], null, v7, v0, v[5:6]
	v_mul_lo_u32 v9, v7, v9
	s_delay_alu instid0(VALU_DEP_1)
	v_add3_u32 v26, v12, v26, v9
	s_waitcnt vmcnt(0) lgkmcnt(0)
	v_lshrrev_b64 v[54:55], 17, v[10:11]
.LBB2_4:
	s_and_not1_saveexec_b32 s1, s1
	s_cbranch_execz .LBB2_6
; %bb.5:
	flat_load_b32 v0, v[2:3] offset:100
	v_add_co_u32 v25, vcc_lo, v17, v5
	v_add_co_ci_u32_e32 v26, vcc_lo, v18, v6, vcc_lo
	s_waitcnt vmcnt(1)
	v_dual_mov_b32 v7, v19 :: v_dual_mov_b32 v8, v20
	s_waitcnt vmcnt(0) lgkmcnt(0)
	v_lshrrev_b32_e32 v54, 6, v0
.LBB2_6:
	s_or_b32 exec_lo, exec_lo, s1
.LBB2_7:
	s_and_not1_saveexec_b32 s0, s0
	s_cbranch_execz .LBB2_9
; %bb.8:
	flat_load_b64 v[7:8], v[2:3] offset:96
	v_mov_b32_e32 v25, 0
	v_mov_b32_e32 v26, 0
	s_waitcnt vmcnt(0) lgkmcnt(0)
	v_lshlrev_b64 v[54:55], 4, v[7:8]
	v_dual_mov_b32 v8, v6 :: v_dual_mov_b32 v7, v5
.LBB2_9:
	s_or_b32 exec_lo, exec_lo, s0
	s_load_b32 s0, s[8:9], 0x0
	v_mov_b32_e32 v0, 0
	flat_load_b32 v55, v[2:3] offset:104
	s_waitcnt lgkmcnt(0)
	s_cmp_lt_u32 s12, s0
	s_cselect_b32 s0, 12, 18
	s_delay_alu instid0(SALU_CYCLE_1)
	s_add_u32 s0, s8, s0
	s_addc_u32 s1, s9, 0
	s_clause 0x2
	flat_load_b128 v[9:12], v[2:3] offset:16
	flat_load_u16 v14, v[2:3] offset:8
	flat_load_b32 v13, v[2:3] offset:4
	global_load_u16 v0, v0, s[0:1]
	s_mov_b32 s1, 0
	s_cbranch_execnz .LBB2_17
; %bb.10:
	s_waitcnt vmcnt(0)
	ds_load_b32 v2, v0
	s_waitcnt lgkmcnt(1)
	v_lshrrev_b64 v[13:14], 31, v[13:14]
	s_delay_alu instid0(VALU_DEP_1)
	v_and_b32_e32 v14, 3, v13
	v_and_b32_e32 v13, 31, v4
	s_waitcnt lgkmcnt(0)
	v_cmp_gt_i32_e32 vcc_lo, 0, v2
	v_readfirstlane_b32 s6, v2
	s_cbranch_vccnz .LBB2_19
; %bb.11:
	v_cmp_eq_u32_e32 vcc_lo, 0, v13
	s_cbranch_execnz .LBB2_23
; %bb.12:
	ds_load_b64 v[15:16], v0
	v_mov_b32_e32 v3, 0
	v_and_b32_e32 v21, 0xffff, v14
	s_mov_b32 s1, 1
	s_delay_alu instid0(VALU_DEP_2) | instskip(SKIP_1) | instid1(VALU_DEP_1)
	v_lshlrev_b64 v[2:3], 3, v[2:3]
	s_waitcnt lgkmcnt(0)
	v_add_co_u32 v2, s0, v15, v2
	s_delay_alu instid0(VALU_DEP_1)
	v_add_co_ci_u32_e64 v3, s0, v16, v3, s0
	flat_load_b64 v[2:3], v[2:3]
	s_waitcnt vmcnt(0) lgkmcnt(0)
	v_mad_u64_u32 v[15:16], null, 0xa8, v21, v[2:3]
	s_clause 0x1
	flat_load_b64 v[29:30], v[15:16] offset:504
	flat_load_b64 v[32:33], v[15:16] offset:608
	v_add_co_u32 v2, s0, 0x1f8, v15
	s_delay_alu instid0(VALU_DEP_1) | instskip(NEXT) | instid1(VALU_DEP_1)
	v_add_co_ci_u32_e64 v3, s0, 0, v16, s0
	v_dual_cndmask_b32 v27, 0, v2 :: v_dual_cndmask_b32 v28, 0, v3
	s_cbranch_execz .LBB2_20
.LBB2_13:
	s_trap 2
	s_sendmsg_rtn_b32 s0, sendmsg(MSG_RTN_GET_DOORBELL)
	s_mov_b32 ttmp2, m0
	s_waitcnt lgkmcnt(0)
	s_and_b32 s0, s0, 0x3ff
	s_delay_alu instid0(SALU_CYCLE_1) | instskip(NEXT) | instid1(SALU_CYCLE_1)
	s_bitset1_b32 s0, 10
	s_mov_b32 m0, s0
	s_sendmsg sendmsg(MSG_INTERRUPT)
	s_mov_b32 m0, ttmp2
.LBB2_14:                               ; =>This Inner Loop Header: Depth=1
	s_sethalt 5
	s_branch .LBB2_14
.LBB2_15:
	s_trap 2
	s_sendmsg_rtn_b32 s0, sendmsg(MSG_RTN_GET_DOORBELL)
	s_mov_b32 ttmp2, m0
	s_waitcnt lgkmcnt(0)
	s_and_b32 s0, s0, 0x3ff
	s_delay_alu instid0(SALU_CYCLE_1) | instskip(NEXT) | instid1(SALU_CYCLE_1)
	s_bitset1_b32 s0, 10
	s_mov_b32 m0, s0
	s_sendmsg sendmsg(MSG_INTERRUPT)
	s_mov_b32 m0, ttmp2
.LBB2_16:                               ; =>This Inner Loop Header: Depth=1
	s_sethalt 5
	s_branch .LBB2_16
.LBB2_17:
	s_trap 2
	s_sendmsg_rtn_b32 s0, sendmsg(MSG_RTN_GET_DOORBELL)
	s_mov_b32 ttmp2, m0
	s_waitcnt lgkmcnt(0)
	s_and_b32 s0, s0, 0x3ff
	s_delay_alu instid0(SALU_CYCLE_1) | instskip(NEXT) | instid1(SALU_CYCLE_1)
	s_bitset1_b32 s0, 10
	s_mov_b32 m0, s0
	s_sendmsg sendmsg(MSG_INTERRUPT)
	s_mov_b32 m0, ttmp2
.LBB2_18:                               ; =>This Inner Loop Header: Depth=1
	s_sethalt 5
	s_branch .LBB2_18
.LBB2_19:
	v_mov_b32_e32 v27, 0
	v_mov_b32_e32 v28, 0
                                        ; implicit-def: $vgpr32_vgpr33
                                        ; implicit-def: $vgpr29_vgpr30
	s_cbranch_execnz .LBB2_13
.LBB2_20:
	ds_load_b32 v2, v0
	v_mov_b32_e32 v36, 0
	v_mov_b32_e32 v37, 0
	s_waitcnt lgkmcnt(0)
	v_cmp_gt_i32_e32 vcc_lo, 0, v2
	s_cbranch_vccnz .LBB2_25
; %bb.21:
	s_cbranch_execnz .LBB2_253
; %bb.22:
	ds_load_b64 v[15:16], v0
	v_mov_b32_e32 v3, 0
	s_delay_alu instid0(VALU_DEP_1) | instskip(SKIP_1) | instid1(VALU_DEP_1)
	v_lshlrev_b64 v[2:3], 3, v[2:3]
	s_waitcnt lgkmcnt(0)
	v_add_co_u32 v2, vcc_lo, v15, v2
	s_delay_alu instid0(VALU_DEP_2)
	v_add_co_ci_u32_e32 v3, vcc_lo, v16, v3, vcc_lo
	v_and_b32_e32 v16, 0xffff, v14
	v_cmp_eq_u32_e32 vcc_lo, 0, v13
	flat_load_b64 v[2:3], v[2:3]
	s_waitcnt vmcnt(0) lgkmcnt(0)
	v_mad_u64_u32 v[14:15], null, 0xa8, v16, v[2:3]
	s_clause 0x1
	flat_load_b64 v[38:39], v[14:15]
	flat_load_b64 v[21:22], v[14:15] offset:104
	v_dual_cndmask_b32 v35, 0, v15 :: v_dual_cndmask_b32 v34, 0, v14
	s_branch .LBB2_26
.LBB2_23:
	s_trap 2
	s_sendmsg_rtn_b32 s0, sendmsg(MSG_RTN_GET_DOORBELL)
	s_mov_b32 ttmp2, m0
	s_waitcnt lgkmcnt(0)
	s_and_b32 s0, s0, 0x3ff
	s_delay_alu instid0(SALU_CYCLE_1) | instskip(NEXT) | instid1(SALU_CYCLE_1)
	s_bitset1_b32 s0, 10
	s_mov_b32 m0, s0
	s_sendmsg sendmsg(MSG_INTERRUPT)
	s_mov_b32 m0, ttmp2
.LBB2_24:                               ; =>This Inner Loop Header: Depth=1
	s_sethalt 5
	s_branch .LBB2_24
.LBB2_25:
	s_delay_alu instid0(VALU_DEP_2)
	v_dual_mov_b32 v34, v36 :: v_dual_mov_b32 v35, v37
                                        ; implicit-def: $vgpr21_vgpr22
                                        ; implicit-def: $vgpr38_vgpr39
.LBB2_26:
	v_subrev_nc_u32_e32 v2, 32, v1
	v_cmp_gt_u32_e64 s0, s1, v13
                                        ; implicit-def: $vgpr48_vgpr49
	s_delay_alu instid0(VALU_DEP_2) | instskip(NEXT) | instid1(VALU_DEP_2)
	v_cmp_le_i32_e32 vcc_lo, v2, v4
	s_and_b32 s18, vcc_lo, s0
	s_delay_alu instid0(SALU_CYCLE_1)
	s_and_saveexec_b32 s0, s18
; %bb.27:
	s_clause 0x1
	flat_load_b64 v[36:37], v[27:28] offset:56
	flat_load_b64 v[48:49], v[27:28] offset:104
; %bb.28:
	s_or_b32 exec_lo, exec_lo, s0
	v_mov_b32_e32 v2, 0
	v_mov_b32_e32 v3, 0
	v_cmp_gt_i32_e64 s0, s1, v4
                                        ; implicit-def: $vgpr52_vgpr53
	s_delay_alu instid0(VALU_DEP_2) | instskip(SKIP_1) | instid1(VALU_DEP_3)
	v_dual_mov_b32 v14, v3 :: v_dual_mov_b32 v13, v2
	v_dual_mov_b32 v51, v3 :: v_dual_mov_b32 v50, v2
	s_and_saveexec_b32 s1, s0
	s_cbranch_execz .LBB2_30
; %bb.29:
	flat_load_b64 v[50:51], v[34:35] offset:56
	s_waitcnt vmcnt(0) lgkmcnt(0)
	flat_load_b64 v[52:53], v[50:51] glc dlc
	s_waitcnt vmcnt(0)
	flat_load_b128 v[13:16], v[34:35] offset:96
.LBB2_30:
	s_or_b32 exec_lo, exec_lo, s1
	v_and_b32_e32 v0, 0xffff, v0
	s_mov_b32 s19, exec_lo
	v_cmpx_ne_u64_e32 0, v[7:8]
	s_cbranch_execz .LBB2_241
; %bb.31:
	v_alignbit_b32 v98, v55, v55, 1
	v_add_co_u32 v3, vcc_lo, v19, v5
	v_add_co_ci_u32_e32 v6, vcc_lo, v20, v6, vcc_lo
	s_delay_alu instid0(VALU_DEP_3) | instskip(SKIP_3) | instid1(VALU_DEP_1)
	v_dual_mov_b32 v66, 0 :: v_dual_and_b32 v99, 0x7fffffff, v98
	s_ashr_i32 s17, s16, 31
	s_ashr_i32 s7, s6, 31
	s_lshl_b64 s[8:9], s[16:17], 2
	v_cvt_f32_u32_e32 v2, v99
	v_sub_nc_u32_e32 v5, 0, v99
	v_add_co_u32 v68, vcc_lo, v23, s8
	v_add_co_ci_u32_e32 v69, vcc_lo, s9, v24, vcc_lo
	s_delay_alu instid0(VALU_DEP_4)
	v_rcp_iflag_f32_e32 v2, v2
	v_add_co_u32 v112, vcc_lo, v3, v17
	v_add_co_ci_u32_e32 v113, vcc_lo, v6, v18, vcc_lo
	s_lshr_b32 s7, s7, 29
	v_dual_mov_b32 v67, 0 :: v_dual_lshlrev_b32 v100, 3, v4
	s_add_i32 s10, s6, s7
	s_waitcnt_depctr 0xfff
	v_dual_mul_f32 v2, 0x4f7ffffe, v2 :: v_dual_and_b32 v19, 31, v31
	v_ashrrev_i32_e32 v114, 31, v100
	v_add_co_u32 v68, vcc_lo, v68, -4
	s_delay_alu instid0(VALU_DEP_3) | instskip(NEXT) | instid1(VALU_DEP_4)
	v_cmp_eq_u32_e64 s6, 0, v19
	v_cvt_u32_f32_e32 v20, v2
	v_ashrrev_i32_e32 v2, 31, v1
	v_add_co_ci_u32_e32 v69, vcc_lo, -1, v69, vcc_lo
	v_add_co_u32 v116, vcc_lo, v11, v100
	s_delay_alu instid0(VALU_DEP_4)
	v_mul_lo_u32 v55, v5, v20
	v_ashrrev_i32_e32 v5, 31, v4
	v_add_co_ci_u32_e32 v117, vcc_lo, v12, v114, vcc_lo
	v_add_co_u32 v118, vcc_lo, v9, v100
	v_add_co_ci_u32_e32 v119, vcc_lo, v10, v114, vcc_lo
	v_mul_hi_u32 v64, v20, v55
	v_dual_mov_b32 v65, 0 :: v_dual_and_b32 v54, 0x1fffff0, v54
	s_ashr_i32 s8, s10, 3
	v_cmp_ne_u64_e64 s1, 0, v[50:51]
	s_and_b32 s20, s8, -16
	s_waitcnt vmcnt(0) lgkmcnt(0)
	v_cmp_ne_u64_e64 s2, 0, v[13:14]
	v_cmp_ne_u64_e64 s5, 0, v[36:37]
	v_add_nc_u32_e32 v3, v20, v64
	v_lshrrev_b32_e32 v64, 27, v2
	v_lshlrev_b64 v[19:20], 4, v[4:5]
	v_lshlrev_b64 v[5:6], 4, v[1:2]
	v_cmp_ne_u32_e64 s3, 32, v1
	v_mad_u64_u32 v[17:18], null, v3, -1, 0
	v_add_nc_u32_e32 v3, v1, v64
	v_add_co_u32 v128, s8, v38, v19
	v_cmp_ne_u32_e64 s4, v0, v1
	v_dual_mov_b32 v103, 1 :: v_dual_lshlrev_b32 v102, 6, v1
	v_mul_lo_u32 v2, v18, v99
	v_add_nc_u32_e32 v17, 1, v18
	v_ashrrev_i32_e32 v130, 5, v3
	v_cmp_gt_i32_e64 s7, 0, v98
	s_ashr_i32 s17, s10, 7
	v_add_co_ci_u32_e64 v129, s8, v39, v20, s8
	s_delay_alu instid0(VALU_DEP_3)
	v_ashrrev_i32_e32 v131, 31, v130
	v_not_b32_e32 v2, v2
	v_mov_b32_e32 v133, 0
	s_cmp_gt_i32 s16, 2
	s_mov_b32 s21, 0
	s_cselect_b32 s22, -1, 0
	v_cmp_ge_u32_e32 vcc_lo, v2, v99
	v_sub_nc_u32_e32 v9, v2, v99
	v_mov_b32_e32 v55, v65
	v_cndmask_b32_e32 v17, v18, v17, vcc_lo
	s_delay_alu instid0(VALU_DEP_3) | instskip(SKIP_2) | instid1(VALU_DEP_4)
	v_cndmask_b32_e32 v2, v2, v9, vcc_lo
	v_add_co_u32 v9, vcc_lo, v116, v25
	v_add_co_ci_u32_e32 v10, vcc_lo, v117, v26, vcc_lo
	v_add_nc_u32_e32 v3, 1, v17
	s_delay_alu instid0(VALU_DEP_4) | instskip(NEXT) | instid1(VALU_DEP_2)
	v_cmp_ge_u32_e32 vcc_lo, v2, v99
	v_dual_cndmask_b32 v132, v17, v3 :: v_dual_lshlrev_b32 v101, 3, v1
	v_mov_b32_e32 v2, v66
	s_delay_alu instid0(VALU_DEP_2)
	v_ashrrev_i32_e32 v115, 31, v101
	v_mov_b32_e32 v3, v67
.LBB2_32:                               ; =>This Loop Header: Depth=1
                                        ;     Child Loop BB2_39 Depth 2
                                        ;     Child Loop BB2_59 Depth 2
                                        ;     Child Loop BB2_75 Depth 2
                                        ;     Child Loop BB2_82 Depth 2
                                        ;     Child Loop BB2_85 Depth 2
                                        ;       Child Loop BB2_92 Depth 3
                                        ;       Child Loop BB2_112 Depth 3
	;; [unrolled: 1-line block ×3, first 2 shown]
                                        ;         Child Loop BB2_138 Depth 4
                                        ;       Child Loop BB2_156 Depth 3
                                        ;       Child Loop BB2_173 Depth 3
                                        ;     Child Loop BB2_178 Depth 2
                                        ;       Child Loop BB2_186 Depth 3
                                        ;     Child Loop BB2_224 Depth 2
	s_waitcnt vmcnt(0) lgkmcnt(0)
	flat_load_b32 v19, v[68:69]
	v_sub_co_u32 v17, vcc_lo, v7, v66
	v_sub_co_ci_u32_e32 v18, vcc_lo, v8, v67, vcc_lo
	s_delay_alu instid0(VALU_DEP_1) | instskip(SKIP_1) | instid1(VALU_DEP_1)
	v_cmp_lt_u64_e32 vcc_lo, v[54:55], v[17:18]
	v_cndmask_b32_e32 v20, v17, v54, vcc_lo
	v_lshl_add_u32 v17, v20, 1, 14
	s_delay_alu instid0(VALU_DEP_1)
	v_and_b32_e32 v135, 0x7fffff0, v17
	s_and_saveexec_b32 s8, s1
	s_cbranch_execz .LBB2_50
; %bb.33:                               ;   in Loop: Header=BB2_32 Depth=1
	v_add_co_u32 v17, vcc_lo, v15, 1
	v_add_co_ci_u32_e32 v18, vcc_lo, 0, v16, vcc_lo
	v_add_co_u32 v70, vcc_lo, v52, 8
	v_add_co_ci_u32_e32 v71, vcc_lo, 0, v53, vcc_lo
	s_mov_b32 s9, exec_lo
	s_delay_alu instid0(VALU_DEP_1)
	v_cmpx_lt_u64_e64 v[70:71], v[17:18]
	s_cbranch_execz .LBB2_47
; %bb.34:                               ;   in Loop: Header=BB2_32 Depth=1
	s_sleep 1
	flat_load_b64 v[52:53], v[50:51] glc
	v_cmp_eq_u32_e32 vcc_lo, 0, v133
	s_and_saveexec_b32 s10, vcc_lo
	s_cbranch_execz .LBB2_46
; %bb.35:                               ;   in Loop: Header=BB2_32 Depth=1
	v_cndmask_b32_e64 v16, 0, 1, vcc_lo
	s_mov_b32 s11, 0
                                        ; implicit-def: $sgpr12
	s_branch .LBB2_39
.LBB2_36:                               ;   in Loop: Header=BB2_39 Depth=2
	s_or_b32 exec_lo, exec_lo, s15
	s_delay_alu instid0(SALU_CYCLE_1)
	s_or_not1_b32 s15, s23, exec_lo
.LBB2_37:                               ;   in Loop: Header=BB2_39 Depth=2
	s_or_b32 exec_lo, exec_lo, s14
	s_xor_b32 s14, s15, -1
	s_and_not1_b32 s12, s12, exec_lo
	s_and_b32 s14, s14, exec_lo
	s_delay_alu instid0(SALU_CYCLE_1)
	s_or_b32 s12, s12, s14
.LBB2_38:                               ;   in Loop: Header=BB2_39 Depth=2
	s_or_b32 exec_lo, exec_lo, s13
	s_delay_alu instid0(SALU_CYCLE_1) | instskip(NEXT) | instid1(SALU_CYCLE_1)
	s_and_b32 s13, exec_lo, s12
	s_or_b32 s11, s13, s11
	s_delay_alu instid0(SALU_CYCLE_1)
	s_and_not1_b32 exec_lo, exec_lo, s11
	s_cbranch_execz .LBB2_45
.LBB2_39:                               ;   Parent Loop BB2_32 Depth=1
                                        ; =>  This Inner Loop Header: Depth=2
	s_waitcnt vmcnt(0) lgkmcnt(0)
	v_add_co_u32 v70, vcc_lo, v52, 8
	v_add_co_ci_u32_e32 v71, vcc_lo, 0, v53, vcc_lo
	v_mov_b32_e32 v133, 0
	s_or_b32 s12, s12, exec_lo
	s_mov_b32 s13, exec_lo
	s_delay_alu instid0(VALU_DEP_2)
	v_cmpx_lt_u64_e64 v[70:71], v[17:18]
	s_cbranch_execz .LBB2_38
; %bb.40:                               ;   in Loop: Header=BB2_39 Depth=2
	s_sleep 1
	flat_load_b64 v[52:53], v[50:51] glc
	v_dual_mov_b32 v133, 0 :: v_dual_add_nc_u32 v16, 1, v16
	s_mov_b32 s15, -1
	s_mov_b32 s14, exec_lo
	s_delay_alu instid0(VALU_DEP_1)
	v_cmpx_eq_u32_e32 0x2710, v16
	s_cbranch_execz .LBB2_37
; %bb.41:                               ;   in Loop: Header=BB2_39 Depth=2
	s_cbranch_execnz .LBB2_259
; %bb.42:                               ;   in Loop: Header=BB2_39 Depth=2
	ds_load_b64 v[70:71], v0
	v_dual_mov_b32 v16, 0 :: v_dual_mov_b32 v133, 0
	s_mov_b32 s23, -1
	s_mov_b32 s15, exec_lo
	s_waitcnt vmcnt(0) lgkmcnt(0)
	s_waitcnt_vscnt null, 0x0
	flat_load_b32 v64, v[70:71] glc
	s_waitcnt vmcnt(0) lgkmcnt(0)
	buffer_gl1_inv
	buffer_gl0_inv
	v_cmpx_ne_u32_e32 0, v64
	s_cbranch_execz .LBB2_36
; %bb.43:                               ;   in Loop: Header=BB2_39 Depth=2
	ds_store_b32 v0, v64
	s_cbranch_execnz .LBB2_284
; %bb.44:                               ;   in Loop: Header=BB2_39 Depth=2
	v_mov_b32_e32 v133, 1
	s_xor_b32 s23, exec_lo, -1
	s_branch .LBB2_36
.LBB2_45:                               ;   in Loop: Header=BB2_32 Depth=1
	s_or_b32 exec_lo, exec_lo, s11
.LBB2_46:                               ;   in Loop: Header=BB2_32 Depth=1
	s_delay_alu instid0(SALU_CYCLE_1)
	s_or_b32 exec_lo, exec_lo, s10
.LBB2_47:                               ;   in Loop: Header=BB2_32 Depth=1
	s_delay_alu instid0(SALU_CYCLE_1)
	s_or_b32 exec_lo, exec_lo, s9
	s_and_saveexec_b32 s9, s2
	s_cbranch_execz .LBB2_49
; %bb.48:                               ;   in Loop: Header=BB2_32 Depth=1
	v_and_b32_e32 v64, 0x7ffffff8, v15
	v_and_b32_e32 v16, 7, v15
	s_delay_alu instid0(VALU_DEP_2) | instskip(NEXT) | instid1(VALU_DEP_2)
	v_cmp_eq_u64_e32 vcc_lo, 0x7ffffff8, v[64:65]
	v_mad_u64_u32 v[70:71], null, v16, 24, v[13:14]
	v_cndmask_b32_e64 v15, v135, s20, vcc_lo
	s_delay_alu instid0(VALU_DEP_1)
	v_ashrrev_i32_e32 v16, 31, v15
	flat_store_b64 v[70:71], v[15:16] offset:8 dlc
	s_waitcnt_vscnt null, 0x0
.LBB2_49:                               ;   in Loop: Header=BB2_32 Depth=1
	s_or_b32 exec_lo, exec_lo, s9
	v_dual_mov_b32 v15, v17 :: v_dual_mov_b32 v16, v18
.LBB2_50:                               ;   in Loop: Header=BB2_32 Depth=1
	s_or_b32 exec_lo, exec_lo, s8
	s_and_saveexec_b32 s8, s3
	s_cbranch_execz .LBB2_72
; %bb.51:                               ;   in Loop: Header=BB2_32 Depth=1
	s_and_saveexec_b32 s9, s4
	s_delay_alu instid0(SALU_CYCLE_1)
	s_xor_b32 s9, exec_lo, s9
	s_cbranch_execz .LBB2_69
; %bb.52:                               ;   in Loop: Header=BB2_32 Depth=1
	s_and_saveexec_b32 s10, s6
	s_cbranch_execz .LBB2_68
; %bb.53:                               ;   in Loop: Header=BB2_32 Depth=1
	s_mov_b32 s12, exec_lo
	s_mov_b32 s11, exec_lo
	v_mbcnt_lo_u32_b32 v17, s12, 0
	s_waitcnt vmcnt(0) lgkmcnt(0)
	s_waitcnt_vscnt null, 0x0
	buffer_gl1_inv
	buffer_gl0_inv
	v_cmpx_eq_u32_e32 0, v17
	s_cbranch_execz .LBB2_55
; %bb.54:                               ;   in Loop: Header=BB2_32 Depth=1
	s_bcnt1_i32_b32 s12, s12
	s_delay_alu instid0(SALU_CYCLE_1)
	v_mov_b32_e32 v64, s12
	ds_add_u64 v0, v[64:65]
	s_cbranch_execnz .LBB2_278
.LBB2_55:                               ;   in Loop: Header=BB2_32 Depth=1
	s_or_b32 exec_lo, exec_lo, s11
	s_cbranch_execnz .LBB2_265
; %bb.56:                               ;   in Loop: Header=BB2_32 Depth=1
	ds_load_b64 v[17:18], v0
	v_add_co_u32 v2, vcc_lo, v2, v130
	v_add_co_ci_u32_e32 v3, vcc_lo, v3, v131, vcc_lo
	s_mov_b32 s11, exec_lo
	s_waitcnt lgkmcnt(0)
	s_delay_alu instid0(VALU_DEP_1)
	v_cmpx_lt_u64_e64 v[17:18], v[2:3]
	s_cbranch_execz .LBB2_67
; %bb.57:                               ;   in Loop: Header=BB2_32 Depth=1
	s_mov_b32 s12, 0
	s_mov_b32 s15, 0
                                        ; implicit-def: $sgpr13
                                        ; implicit-def: $sgpr14
	s_branch .LBB2_59
.LBB2_58:                               ;   in Loop: Header=BB2_59 Depth=2
	s_or_b32 exec_lo, exec_lo, s25
	s_delay_alu instid0(SALU_CYCLE_1) | instskip(NEXT) | instid1(SALU_CYCLE_1)
	s_and_b32 s23, exec_lo, s24
	s_or_b32 s12, s23, s12
	s_and_not1_b32 s13, s13, exec_lo
	s_and_b32 s23, s14, exec_lo
	s_delay_alu instid0(SALU_CYCLE_1)
	s_or_b32 s13, s13, s23
	s_and_not1_b32 exec_lo, exec_lo, s12
	s_cbranch_execz .LBB2_65
.LBB2_59:                               ;   Parent Loop BB2_32 Depth=1
                                        ; =>  This Inner Loop Header: Depth=2
	s_add_i32 s15, s15, 1
                                        ; implicit-def: $sgpr24
	s_delay_alu instid0(SALU_CYCLE_1) | instskip(SKIP_1) | instid1(SALU_CYCLE_1)
	s_cmpk_lg_i32 s15, 0x2710
	s_cselect_b32 s23, -1, 0
	s_and_b32 vcc_lo, exec_lo, s23
	s_cbranch_vccz .LBB2_63
.LBB2_60:                               ;   in Loop: Header=BB2_59 Depth=2
	s_and_not1_b32 s14, s14, exec_lo
	s_and_b32 s25, s24, exec_lo
	s_mov_b32 s24, -1
	s_or_b32 s14, s14, s25
	s_and_saveexec_b32 s25, s23
	s_cbranch_execz .LBB2_58
; %bb.61:                               ;   in Loop: Header=BB2_59 Depth=2
	s_sleep 1
	s_cbranch_execnz .LBB2_292
; %bb.62:                               ;   in Loop: Header=BB2_59 Depth=2
	ds_load_b64 v[17:18], v0
	s_and_not1_b32 s14, s14, exec_lo
	s_waitcnt lgkmcnt(0)
	v_cmp_ge_u64_e32 vcc_lo, v[17:18], v[2:3]
	s_or_not1_b32 s24, vcc_lo, exec_lo
	s_branch .LBB2_58
.LBB2_63:                               ;   in Loop: Header=BB2_59 Depth=2
	s_cbranch_execnz .LBB2_300
; %bb.64:                               ;   in Loop: Header=BB2_59 Depth=2
	ds_load_b64 v[17:18], v0
	s_and_not1_b32 s23, s23, exec_lo
	s_mov_b32 s15, 0
	s_mov_b32 s24, -1
	s_waitcnt lgkmcnt(0)
	flat_load_b32 v17, v[17:18] glc
	s_waitcnt vmcnt(0) lgkmcnt(0)
	buffer_gl1_inv
	buffer_gl0_inv
	v_cmp_eq_u32_e32 vcc_lo, 0, v17
	s_and_b32 s25, vcc_lo, exec_lo
	s_delay_alu instid0(SALU_CYCLE_1)
	s_or_b32 s23, s23, s25
	s_branch .LBB2_60
.LBB2_65:                               ;   in Loop: Header=BB2_32 Depth=1
	s_or_b32 exec_lo, exec_lo, s12
	s_and_saveexec_b32 s12, s13
	s_delay_alu instid0(SALU_CYCLE_1)
	s_xor_b32 s12, exec_lo, s12
	s_cbranch_execz .LBB2_67
; %bb.66:                               ;   in Loop: Header=BB2_32 Depth=1
	ds_store_b32 v0, v103
	s_cbranch_execnz .LBB2_325
.LBB2_67:                               ;   in Loop: Header=BB2_32 Depth=1
	s_or_b32 exec_lo, exec_lo, s11
	;;#ASMSTART
	s_wakeup
	;;#ASMEND
.LBB2_68:                               ;   in Loop: Header=BB2_32 Depth=1
	s_or_b32 exec_lo, exec_lo, s10
.LBB2_69:                               ;   in Loop: Header=BB2_32 Depth=1
	s_and_not1_saveexec_b32 s9, s9
	s_cbranch_execz .LBB2_71
; %bb.70:                               ;   in Loop: Header=BB2_32 Depth=1
	s_waitcnt vmcnt(0) lgkmcnt(0)
	s_waitcnt_vscnt null, 0x0
	buffer_gl1_inv
	buffer_gl0_inv
	s_barrier
.LBB2_71:                               ;   in Loop: Header=BB2_32 Depth=1
	s_or_b32 exec_lo, exec_lo, s9
.LBB2_72:                               ;   in Loop: Header=BB2_32 Depth=1
	s_delay_alu instid0(SALU_CYCLE_1) | instskip(SKIP_2) | instid1(VALU_DEP_2)
	s_or_b32 exec_lo, exec_lo, s8
	v_sub_nc_u32_e32 v134, v20, v100
	v_mov_b32_e32 v70, v4
	v_cmp_lt_i32_e64 s8, 0, v134
	s_delay_alu instid0(VALU_DEP_1)
	s_and_saveexec_b32 s10, s8
	s_cbranch_execz .LBB2_80
; %bb.73:                               ;   in Loop: Header=BB2_32 Depth=1
	v_dual_mov_b32 v70, v21 :: v_dual_and_b32 v17, 7, v21
	s_waitcnt vmcnt(0) lgkmcnt(0)
	v_ashrrev_i32_e32 v20, 31, v19
	v_mad_u64_u32 v[80:81], null, v112, v19, v[9:10]
	s_delay_alu instid0(VALU_DEP_3) | instskip(SKIP_1) | instid1(VALU_DEP_4)
	v_mul_lo_u32 v17, v17, s17
	v_mul_lo_u32 v82, v113, v19
	;; [unrolled: 1-line block ×4, first 2 shown]
	v_add_co_u32 v71, vcc_lo, 0, 0
	v_mov_b32_e32 v64, v134
	s_mov_b32 s11, 0
	v_ashrrev_i32_e32 v18, 31, v17
	v_add3_u32 v81, v82, v81, v84
	v_add_lshl_u32 v86, v9, v83, 3
	s_delay_alu instid0(VALU_DEP_3) | instskip(SKIP_2) | instid1(VALU_DEP_3)
	v_lshlrev_b64 v[19:20], 4, v[17:18]
	v_add_co_ci_u32_e32 v18, vcc_lo, 1, v70, vcc_lo
	v_mov_b32_e32 v70, v4
	v_add_co_u32 v82, vcc_lo, v128, v19
	s_delay_alu instid0(VALU_DEP_4)
	v_add_co_ci_u32_e32 v83, vcc_lo, v129, v20, vcc_lo
	s_set_inst_prefetch_distance 0x1
	s_branch .LBB2_75
	.p2align	6
.LBB2_74:                               ;   in Loop: Header=BB2_75 Depth=2
	s_or_b32 exec_lo, exec_lo, s9
	s_waitcnt vmcnt(0) lgkmcnt(0)
	v_alignbit_b32 v17, v96, v17, v86
	v_alignbit_b32 v19, v87, v96, v86
	v_mov_b32_e32 v20, v18
	v_sub_nc_u32_e32 v64, v64, v101
	v_add_co_u32 v80, vcc_lo, v80, v101
	v_or_b32_e32 v17, v71, v17
	v_or_b32_e32 v19, v71, v19
	v_add_co_ci_u32_e32 v81, vcc_lo, v81, v115, vcc_lo
	v_cmp_gt_i32_e32 vcc_lo, 1, v64
	v_add_nc_u32_e32 v70, v70, v1
	global_store_b128 v[82:83], v[17:20], off
	v_add_co_u32 v82, s9, v82, v5
	v_add_nc_u32_e32 v86, v86, v102
	v_add_co_ci_u32_e64 v83, s9, v83, v6, s9
	s_or_b32 s11, vcc_lo, s11
	s_delay_alu instid0(SALU_CYCLE_1)
	s_and_not1_b32 exec_lo, exec_lo, s11
	s_cbranch_execz .LBB2_79
.LBB2_75:                               ;   Parent Loop BB2_32 Depth=1
                                        ; =>  This Inner Loop Header: Depth=2
	v_dual_mov_b32 v20, v81 :: v_dual_and_b32 v19, -4, v80
	v_min_u32_e32 v84, 8, v64
	v_dual_mov_b32 v96, 0 :: v_dual_and_b32 v85, 3, v80
	v_mov_b32_e32 v87, 0
	flat_load_b32 v17, v[19:20] glc
	v_add_co_u32 v84, s9, v85, v84
	s_delay_alu instid0(VALU_DEP_1) | instskip(SKIP_1) | instid1(VALU_DEP_1)
	v_add_co_ci_u32_e64 v85, null, 0, 0, s9
	s_mov_b32 s9, exec_lo
	v_cmpx_lt_u64_e32 4, v[84:85]
	s_cbranch_execz .LBB2_77
; %bb.76:                               ;   in Loop: Header=BB2_75 Depth=2
	flat_load_b32 v96, v[19:20] offset:4 glc
.LBB2_77:                               ;   in Loop: Header=BB2_75 Depth=2
	s_or_b32 exec_lo, exec_lo, s9
	s_delay_alu instid0(SALU_CYCLE_1)
	s_mov_b32 s9, exec_lo
	v_cmpx_lt_u64_e32 8, v[84:85]
	s_cbranch_execz .LBB2_74
; %bb.78:                               ;   in Loop: Header=BB2_75 Depth=2
	flat_load_b32 v87, v[19:20] offset:8 glc
	s_branch .LBB2_74
.LBB2_79:                               ;   in Loop: Header=BB2_32 Depth=1
	s_set_inst_prefetch_distance 0x2
	s_or_b32 exec_lo, exec_lo, s11
.LBB2_80:                               ;   in Loop: Header=BB2_32 Depth=1
	s_delay_alu instid0(SALU_CYCLE_1) | instskip(SKIP_2) | instid1(VALU_DEP_2)
	s_or_b32 exec_lo, exec_lo, s10
	v_and_b32_e32 v64, 0x7ffffff8, v21
	v_cmp_gt_i32_e64 s9, s17, v70
	v_cmp_eq_u64_e32 vcc_lo, 0x7ffffff8, v[64:65]
	s_delay_alu instid0(VALU_DEP_2) | instskip(NEXT) | instid1(SALU_CYCLE_1)
	s_and_b32 s9, vcc_lo, s9
	s_and_saveexec_b32 s10, s9
	s_cbranch_execz .LBB2_83
; %bb.81:                               ;   in Loop: Header=BB2_32 Depth=1
	v_dual_mov_b32 v64, v21 :: v_dual_and_b32 v17, 7, v21
	v_ashrrev_i32_e32 v71, 31, v70
	s_mov_b32 s11, 0
	s_delay_alu instid0(VALU_DEP_2) | instskip(SKIP_1) | instid1(VALU_DEP_2)
	v_mul_lo_u32 v17, v17, s17
	s_waitcnt vmcnt(0) lgkmcnt(0)
	v_lshlrev_b64 v[19:20], 4, v[70:71]
	s_delay_alu instid0(VALU_DEP_2) | instskip(NEXT) | instid1(VALU_DEP_1)
	v_ashrrev_i32_e32 v18, 31, v17
	v_lshlrev_b64 v[17:18], 4, v[17:18]
	s_delay_alu instid0(VALU_DEP_1) | instskip(NEXT) | instid1(VALU_DEP_2)
	v_add_co_u32 v19, vcc_lo, v19, v17
	v_add_co_ci_u32_e32 v20, vcc_lo, v20, v18, vcc_lo
	v_add_co_u32 v17, vcc_lo, 0, 0
	v_add_co_ci_u32_e32 v18, vcc_lo, 1, v64, vcc_lo
	s_delay_alu instid0(VALU_DEP_4) | instskip(NEXT) | instid1(VALU_DEP_4)
	v_add_co_u32 v80, vcc_lo, v38, v19
	v_add_co_ci_u32_e32 v81, vcc_lo, v39, v20, vcc_lo
.LBB2_82:                               ;   Parent Loop BB2_32 Depth=1
                                        ; =>  This Inner Loop Header: Depth=2
	s_delay_alu instid0(VALU_DEP_4) | instskip(NEXT) | instid1(VALU_DEP_4)
	v_dual_mov_b32 v19, v17 :: v_dual_add_nc_u32 v70, v70, v1
	v_mov_b32_e32 v20, v18
	s_delay_alu instid0(VALU_DEP_2) | instskip(SKIP_2) | instid1(VALU_DEP_1)
	v_cmp_le_i32_e32 vcc_lo, s17, v70
	global_store_b128 v[80:81], v[17:20], off
	v_add_co_u32 v80, s9, v80, v5
	v_add_co_ci_u32_e64 v81, s9, v81, v6, s9
	s_or_b32 s11, vcc_lo, s11
	s_delay_alu instid0(SALU_CYCLE_1)
	s_and_not1_b32 exec_lo, exec_lo, s11
	s_cbranch_execnz .LBB2_82
.LBB2_83:                               ;   in Loop: Header=BB2_32 Depth=1
	s_or_b32 exec_lo, exec_lo, s10
	v_add_co_u32 v144, vcc_lo, v66, v25
	v_add_co_ci_u32_e32 v145, vcc_lo, v67, v26, vcc_lo
	v_add_co_u32 v70, vcc_lo, v21, 1
	v_add_co_ci_u32_e32 v71, vcc_lo, 0, v22, vcc_lo
	s_and_not1_b32 vcc_lo, exec_lo, s22
	s_cbranch_vccnz .LBB2_175
; %bb.84:                               ;   in Loop: Header=BB2_32 Depth=1
	v_add_co_u32 v80, vcc_lo, v116, v144
	v_add_co_ci_u32_e32 v81, vcc_lo, v117, v145, vcc_lo
	v_add_nc_u16 v146, v21, 1
	s_mov_b32 s11, 2
.LBB2_85:                               ;   Parent Loop BB2_32 Depth=1
                                        ; =>  This Loop Header: Depth=2
                                        ;       Child Loop BB2_92 Depth 3
                                        ;       Child Loop BB2_112 Depth 3
	;; [unrolled: 1-line block ×3, first 2 shown]
                                        ;         Child Loop BB2_138 Depth 4
                                        ;       Child Loop BB2_156 Depth 3
                                        ;       Child Loop BB2_173 Depth 3
	s_delay_alu instid0(SALU_CYCLE_1) | instskip(NEXT) | instid1(SALU_CYCLE_1)
	s_sub_i32 s12, s16, s11
	s_ashr_i32 s13, s12, 31
	s_delay_alu instid0(SALU_CYCLE_1) | instskip(NEXT) | instid1(SALU_CYCLE_1)
	s_lshl_b64 s[12:13], s[12:13], 2
	v_add_co_u32 v17, vcc_lo, v23, s12
	v_add_co_ci_u32_e32 v18, vcc_lo, s13, v24, vcc_lo
	s_waitcnt vmcnt(0) lgkmcnt(0)
	flat_load_b32 v19, v[17:18]
	s_and_saveexec_b32 s9, s1
	s_cbranch_execz .LBB2_103
; %bb.86:                               ;   in Loop: Header=BB2_85 Depth=2
	v_add_co_u32 v17, vcc_lo, v15, 1
	v_add_co_ci_u32_e32 v18, vcc_lo, 0, v16, vcc_lo
	v_add_co_u32 v20, vcc_lo, v52, 8
	v_add_co_ci_u32_e32 v21, vcc_lo, 0, v53, vcc_lo
	s_mov_b32 s10, exec_lo
	s_delay_alu instid0(VALU_DEP_1)
	v_cmpx_lt_u64_e64 v[20:21], v[17:18]
	s_cbranch_execz .LBB2_100
; %bb.87:                               ;   in Loop: Header=BB2_85 Depth=2
	s_sleep 1
	flat_load_b64 v[52:53], v[50:51] glc
	v_cmp_eq_u32_e32 vcc_lo, 0, v133
	s_and_saveexec_b32 s12, vcc_lo
	s_cbranch_execz .LBB2_99
; %bb.88:                               ;   in Loop: Header=BB2_85 Depth=2
	v_cndmask_b32_e64 v16, 0, 1, vcc_lo
	s_mov_b32 s13, 0
                                        ; implicit-def: $sgpr14
	s_branch .LBB2_92
.LBB2_89:                               ;   in Loop: Header=BB2_92 Depth=3
	s_or_b32 exec_lo, exec_lo, s24
	s_delay_alu instid0(SALU_CYCLE_1)
	s_or_not1_b32 s24, s25, exec_lo
.LBB2_90:                               ;   in Loop: Header=BB2_92 Depth=3
	s_or_b32 exec_lo, exec_lo, s23
	s_xor_b32 s23, s24, -1
	s_and_not1_b32 s14, s14, exec_lo
	s_and_b32 s23, s23, exec_lo
	s_delay_alu instid0(SALU_CYCLE_1)
	s_or_b32 s14, s14, s23
.LBB2_91:                               ;   in Loop: Header=BB2_92 Depth=3
	s_or_b32 exec_lo, exec_lo, s15
	s_delay_alu instid0(SALU_CYCLE_1) | instskip(NEXT) | instid1(SALU_CYCLE_1)
	s_and_b32 s15, exec_lo, s14
	s_or_b32 s13, s15, s13
	s_delay_alu instid0(SALU_CYCLE_1)
	s_and_not1_b32 exec_lo, exec_lo, s13
	s_cbranch_execz .LBB2_98
.LBB2_92:                               ;   Parent Loop BB2_32 Depth=1
                                        ;     Parent Loop BB2_85 Depth=2
                                        ; =>    This Inner Loop Header: Depth=3
	s_waitcnt vmcnt(0) lgkmcnt(0)
	v_add_co_u32 v20, vcc_lo, v52, 8
	v_add_co_ci_u32_e32 v21, vcc_lo, 0, v53, vcc_lo
	v_mov_b32_e32 v133, 0
	s_or_b32 s14, s14, exec_lo
	s_mov_b32 s15, exec_lo
	s_delay_alu instid0(VALU_DEP_2)
	v_cmpx_lt_u64_e64 v[20:21], v[17:18]
	s_cbranch_execz .LBB2_91
; %bb.93:                               ;   in Loop: Header=BB2_92 Depth=3
	s_sleep 1
	flat_load_b64 v[52:53], v[50:51] glc
	v_dual_mov_b32 v133, 0 :: v_dual_add_nc_u32 v16, 1, v16
	s_mov_b32 s24, -1
	s_mov_b32 s23, exec_lo
	s_delay_alu instid0(VALU_DEP_1)
	v_cmpx_eq_u32_e32 0x2710, v16
	s_cbranch_execz .LBB2_90
; %bb.94:                               ;   in Loop: Header=BB2_92 Depth=3
	s_cbranch_execnz .LBB2_261
; %bb.95:                               ;   in Loop: Header=BB2_92 Depth=3
	ds_load_b64 v[20:21], v0
	v_dual_mov_b32 v16, 0 :: v_dual_mov_b32 v133, 0
	s_mov_b32 s25, -1
	s_mov_b32 s24, exec_lo
	s_waitcnt vmcnt(0) lgkmcnt(0)
	s_waitcnt_vscnt null, 0x0
	flat_load_b32 v20, v[20:21] glc
	s_waitcnt vmcnt(0) lgkmcnt(0)
	buffer_gl1_inv
	buffer_gl0_inv
	v_cmpx_ne_u32_e32 0, v20
	s_cbranch_execz .LBB2_89
; %bb.96:                               ;   in Loop: Header=BB2_92 Depth=3
	ds_store_b32 v0, v20
	s_cbranch_execnz .LBB2_288
; %bb.97:                               ;   in Loop: Header=BB2_92 Depth=3
	v_mov_b32_e32 v133, 1
	s_xor_b32 s25, exec_lo, -1
	s_branch .LBB2_89
.LBB2_98:                               ;   in Loop: Header=BB2_85 Depth=2
	s_or_b32 exec_lo, exec_lo, s13
.LBB2_99:                               ;   in Loop: Header=BB2_85 Depth=2
	s_delay_alu instid0(SALU_CYCLE_1)
	s_or_b32 exec_lo, exec_lo, s12
.LBB2_100:                              ;   in Loop: Header=BB2_85 Depth=2
	s_delay_alu instid0(SALU_CYCLE_1)
	s_or_b32 exec_lo, exec_lo, s10
	s_and_saveexec_b32 s10, s2
	s_cbranch_execz .LBB2_102
; %bb.101:                              ;   in Loop: Header=BB2_85 Depth=2
	v_and_b32_e32 v64, 0x7ffffff8, v15
	v_and_b32_e32 v16, 7, v15
	s_delay_alu instid0(VALU_DEP_2) | instskip(NEXT) | instid1(VALU_DEP_2)
	v_cmp_eq_u64_e32 vcc_lo, 0x7ffffff8, v[64:65]
	v_mad_u64_u32 v[20:21], null, v16, 24, v[13:14]
	v_cndmask_b32_e64 v15, v135, s20, vcc_lo
	s_delay_alu instid0(VALU_DEP_1)
	v_ashrrev_i32_e32 v16, 31, v15
	flat_store_b64 v[20:21], v[15:16] offset:8 dlc
	s_waitcnt_vscnt null, 0x0
.LBB2_102:                              ;   in Loop: Header=BB2_85 Depth=2
	s_or_b32 exec_lo, exec_lo, s10
	v_dual_mov_b32 v15, v17 :: v_dual_mov_b32 v16, v18
.LBB2_103:                              ;   in Loop: Header=BB2_85 Depth=2
	s_or_b32 exec_lo, exec_lo, s9
	s_and_saveexec_b32 s9, s3
	s_cbranch_execz .LBB2_125
; %bb.104:                              ;   in Loop: Header=BB2_85 Depth=2
	s_and_saveexec_b32 s10, s4
	s_delay_alu instid0(SALU_CYCLE_1)
	s_xor_b32 s10, exec_lo, s10
	s_cbranch_execz .LBB2_122
; %bb.105:                              ;   in Loop: Header=BB2_85 Depth=2
	s_and_saveexec_b32 s12, s6
	s_cbranch_execz .LBB2_121
; %bb.106:                              ;   in Loop: Header=BB2_85 Depth=2
	s_mov_b32 s14, exec_lo
	s_mov_b32 s13, exec_lo
	v_mbcnt_lo_u32_b32 v17, s14, 0
	s_waitcnt vmcnt(0) lgkmcnt(0)
	s_waitcnt_vscnt null, 0x0
	buffer_gl1_inv
	buffer_gl0_inv
	v_cmpx_eq_u32_e32 0, v17
	s_cbranch_execz .LBB2_108
; %bb.107:                              ;   in Loop: Header=BB2_85 Depth=2
	s_bcnt1_i32_b32 s14, s14
	s_delay_alu instid0(SALU_CYCLE_1)
	v_mov_b32_e32 v64, s14
	ds_add_u64 v0, v[64:65]
	s_cbranch_execnz .LBB2_286
.LBB2_108:                              ;   in Loop: Header=BB2_85 Depth=2
	s_or_b32 exec_lo, exec_lo, s13
	s_cbranch_execnz .LBB2_280
; %bb.109:                              ;   in Loop: Header=BB2_85 Depth=2
	ds_load_b64 v[17:18], v0
	v_add_co_u32 v2, vcc_lo, v2, v130
	v_add_co_ci_u32_e32 v3, vcc_lo, v3, v131, vcc_lo
	s_mov_b32 s13, exec_lo
	s_waitcnt lgkmcnt(0)
	s_delay_alu instid0(VALU_DEP_1)
	v_cmpx_lt_u64_e64 v[17:18], v[2:3]
	s_cbranch_execz .LBB2_120
; %bb.110:                              ;   in Loop: Header=BB2_85 Depth=2
	s_mov_b32 s14, 0
	s_mov_b32 s24, 0
                                        ; implicit-def: $sgpr15
                                        ; implicit-def: $sgpr23
	s_branch .LBB2_112
.LBB2_111:                              ;   in Loop: Header=BB2_112 Depth=3
	s_or_b32 exec_lo, exec_lo, s27
	s_delay_alu instid0(SALU_CYCLE_1) | instskip(NEXT) | instid1(SALU_CYCLE_1)
	s_and_b32 s25, exec_lo, s26
	s_or_b32 s14, s25, s14
	s_and_not1_b32 s15, s15, exec_lo
	s_and_b32 s25, s23, exec_lo
	s_delay_alu instid0(SALU_CYCLE_1)
	s_or_b32 s15, s15, s25
	s_and_not1_b32 exec_lo, exec_lo, s14
	s_cbranch_execz .LBB2_118
.LBB2_112:                              ;   Parent Loop BB2_32 Depth=1
                                        ;     Parent Loop BB2_85 Depth=2
                                        ; =>    This Inner Loop Header: Depth=3
	s_add_i32 s24, s24, 1
                                        ; implicit-def: $sgpr26
	s_delay_alu instid0(SALU_CYCLE_1) | instskip(SKIP_1) | instid1(SALU_CYCLE_1)
	s_cmpk_lg_i32 s24, 0x2710
	s_cselect_b32 s25, -1, 0
	s_and_b32 vcc_lo, exec_lo, s25
	s_cbranch_vccz .LBB2_116
.LBB2_113:                              ;   in Loop: Header=BB2_112 Depth=3
	s_and_not1_b32 s23, s23, exec_lo
	s_and_b32 s27, s26, exec_lo
	s_mov_b32 s26, -1
	s_or_b32 s23, s23, s27
	s_and_saveexec_b32 s27, s25
	s_cbranch_execz .LBB2_111
; %bb.114:                              ;   in Loop: Header=BB2_112 Depth=3
	s_sleep 1
	s_cbranch_execnz .LBB2_304
; %bb.115:                              ;   in Loop: Header=BB2_112 Depth=3
	ds_load_b64 v[17:18], v0
	s_and_not1_b32 s23, s23, exec_lo
	s_waitcnt lgkmcnt(0)
	v_cmp_ge_u64_e32 vcc_lo, v[17:18], v[2:3]
	s_or_not1_b32 s26, vcc_lo, exec_lo
	s_branch .LBB2_111
.LBB2_116:                              ;   in Loop: Header=BB2_112 Depth=3
	s_cbranch_execnz .LBB2_308
; %bb.117:                              ;   in Loop: Header=BB2_112 Depth=3
	ds_load_b64 v[17:18], v0
	s_and_not1_b32 s25, s25, exec_lo
	s_mov_b32 s24, 0
	s_mov_b32 s26, -1
	s_waitcnt lgkmcnt(0)
	flat_load_b32 v17, v[17:18] glc
	s_waitcnt vmcnt(0) lgkmcnt(0)
	buffer_gl1_inv
	buffer_gl0_inv
	v_cmp_eq_u32_e32 vcc_lo, 0, v17
	s_and_b32 s27, vcc_lo, exec_lo
	s_delay_alu instid0(SALU_CYCLE_1)
	s_or_b32 s25, s25, s27
	s_branch .LBB2_113
.LBB2_118:                              ;   in Loop: Header=BB2_85 Depth=2
	s_or_b32 exec_lo, exec_lo, s14
	s_and_saveexec_b32 s14, s15
	s_delay_alu instid0(SALU_CYCLE_1)
	s_xor_b32 s14, exec_lo, s14
	s_cbranch_execz .LBB2_120
; %bb.119:                              ;   in Loop: Header=BB2_85 Depth=2
	ds_store_b32 v0, v103
	s_cbranch_execnz .LBB2_329
.LBB2_120:                              ;   in Loop: Header=BB2_85 Depth=2
	s_or_b32 exec_lo, exec_lo, s13
	;;#ASMSTART
	s_wakeup
	;;#ASMEND
.LBB2_121:                              ;   in Loop: Header=BB2_85 Depth=2
	s_or_b32 exec_lo, exec_lo, s12
.LBB2_122:                              ;   in Loop: Header=BB2_85 Depth=2
	s_and_not1_saveexec_b32 s10, s10
	s_cbranch_execz .LBB2_124
; %bb.123:                              ;   in Loop: Header=BB2_85 Depth=2
	s_waitcnt vmcnt(0) lgkmcnt(0)
	s_waitcnt_vscnt null, 0x0
	buffer_gl1_inv
	buffer_gl0_inv
	s_barrier
.LBB2_124:                              ;   in Loop: Header=BB2_85 Depth=2
	s_or_b32 exec_lo, exec_lo, s10
.LBB2_125:                              ;   in Loop: Header=BB2_85 Depth=2
	s_delay_alu instid0(SALU_CYCLE_1)
	s_or_b32 exec_lo, exec_lo, s9
	v_mov_b32_e32 v82, v4
	s_and_saveexec_b32 s12, s8
	s_cbranch_execz .LBB2_147
; %bb.126:                              ;   in Loop: Header=BB2_85 Depth=2
	v_dual_mov_b32 v82, v70 :: v_dual_and_b32 v17, 7, v32
	v_and_b32_e32 v18, 7, v70
	s_waitcnt vmcnt(0) lgkmcnt(0)
	v_ashrrev_i32_e32 v21, 31, v19
	v_mad_u64_u32 v[84:85], null, v112, v19, v[80:81]
	v_mul_lo_u32 v17, v17, s17
	v_mul_lo_u32 v20, v18, s17
	;; [unrolled: 1-line block ×4, first 2 shown]
	v_add_nc_u32_e32 v64, 1, v32
	v_mov_b32_e32 v160, v134
	s_mov_b32 s13, 0
	v_ashrrev_i32_e32 v18, 31, v17
	v_ashrrev_i32_e32 v21, 31, v20
	v_add3_u32 v85, v19, v85, v22
	s_delay_alu instid0(VALU_DEP_3) | instskip(NEXT) | instid1(VALU_DEP_3)
	v_lshlrev_b64 v[17:18], 4, v[17:18]
	v_lshlrev_b64 v[19:20], 4, v[20:21]
	s_delay_alu instid0(VALU_DEP_2) | instskip(NEXT) | instid1(VALU_DEP_3)
	v_add_co_u32 v147, vcc_lo, v29, v17
	v_add_co_ci_u32_e32 v148, vcc_lo, v30, v18, vcc_lo
	s_delay_alu instid0(VALU_DEP_3) | instskip(NEXT) | instid1(VALU_DEP_4)
	v_add_co_u32 v149, vcc_lo, v38, v19
	v_add_co_ci_u32_e32 v150, vcc_lo, v39, v20, vcc_lo
	v_add_co_u32 v151, vcc_lo, 0, 0
	v_add_co_ci_u32_e32 v18, vcc_lo, 1, v82, vcc_lo
	v_mov_b32_e32 v82, v4
	s_branch .LBB2_130
.LBB2_127:                              ;   in Loop: Header=BB2_130 Depth=3
	s_or_b32 exec_lo, exec_lo, s15
	s_xor_b32 s9, s23, -1
	s_delay_alu instid0(SALU_CYCLE_1) | instskip(NEXT) | instid1(SALU_CYCLE_1)
	s_and_saveexec_b32 s15, s9
	s_xor_b32 s9, exec_lo, s15
	s_delay_alu instid0(SALU_CYCLE_1) | instskip(NEXT) | instid1(SALU_CYCLE_1)
	s_and_not1_saveexec_b32 s9, s9
	s_or_b32 exec_lo, exec_lo, s9
.LBB2_128:                              ;   in Loop: Header=BB2_130 Depth=3
	s_delay_alu instid0(SALU_CYCLE_1)
	s_or_b32 exec_lo, exec_lo, s10
.LBB2_129:                              ;   in Loop: Header=BB2_130 Depth=3
	s_delay_alu instid0(SALU_CYCLE_1)
	s_or_b32 exec_lo, exec_lo, s14
	v_lshlrev_b32_e32 v20, 3, v84
	v_and_b32_e32 v22, 0xff00ff, v19
	v_and_b32_e32 v19, 0xff00ff00, v19
	;; [unrolled: 1-line block ×4, first 2 shown]
	s_waitcnt vmcnt(0) lgkmcnt(0)
	v_alignbit_b32 v17, v162, v17, v20
	v_alignbit_b32 v20, v161, v162, v20
	v_add_co_u32 v84, vcc_lo, v84, v101
	v_sub_nc_u32_e32 v160, v160, v101
	s_delay_alu instid0(VALU_DEP_4)
	v_and_b32_e32 v96, 0xff00ff, v17
	v_and_b32_e32 v17, 0xff00ff00, v17
	;; [unrolled: 1-line block ×4, first 2 shown]
	v_add_co_ci_u32_e32 v85, vcc_lo, v85, v115, vcc_lo
	v_add_nc_u32_e32 v22, v22, v96
	v_add_nc_u32_e32 v17, v19, v17
	;; [unrolled: 1-line block ×4, first 2 shown]
	v_add_co_u32 v21, vcc_lo, v149, v86
	s_delay_alu instid0(VALU_DEP_4) | instskip(SKIP_1) | instid1(VALU_DEP_4)
	v_perm_b32 v17, v17, v22, 0x7020500
	v_add_co_ci_u32_e32 v22, vcc_lo, v150, v87, vcc_lo
	v_perm_b32 v19, v20, v19, 0x7020500
	v_mov_b32_e32 v20, v18
	v_cmp_gt_i32_e32 vcc_lo, 1, v160
	v_or_b32_e32 v17, v151, v17
	v_add_nc_u32_e32 v82, v82, v1
	v_or_b32_e32 v19, v151, v19
	s_or_b32 s13, vcc_lo, s13
	global_store_b128 v[21:22], v[17:20], off
	s_and_not1_b32 exec_lo, exec_lo, s13
	s_cbranch_execz .LBB2_146
.LBB2_130:                              ;   Parent Loop BB2_32 Depth=1
                                        ;     Parent Loop BB2_85 Depth=2
                                        ; =>    This Loop Header: Depth=3
                                        ;         Child Loop BB2_138 Depth 4
	v_dual_mov_b32 v20, v85 :: v_dual_and_b32 v19, -4, v84
	v_min_u32_e32 v21, 8, v160
	v_dual_mov_b32 v161, 0 :: v_dual_and_b32 v22, 3, v84
	v_mov_b32_e32 v162, 0
	flat_load_b32 v17, v[19:20] glc
	v_add_co_u32 v21, s9, v22, v21
	s_delay_alu instid0(VALU_DEP_1) | instskip(SKIP_1) | instid1(VALU_DEP_1)
	v_add_co_ci_u32_e64 v22, null, 0, 0, s9
	s_mov_b32 s9, exec_lo
	v_cmpx_lt_u64_e32 4, v[21:22]
	s_cbranch_execz .LBB2_132
; %bb.131:                              ;   in Loop: Header=BB2_130 Depth=3
	flat_load_b32 v162, v[19:20] offset:4 glc
.LBB2_132:                              ;   in Loop: Header=BB2_130 Depth=3
	s_or_b32 exec_lo, exec_lo, s9
	s_delay_alu instid0(SALU_CYCLE_1)
	s_mov_b32 s9, exec_lo
	v_cmpx_lt_u64_e32 8, v[21:22]
	s_cbranch_execz .LBB2_134
; %bb.133:                              ;   in Loop: Header=BB2_130 Depth=3
	flat_load_b32 v161, v[19:20] offset:8 glc
.LBB2_134:                              ;   in Loop: Header=BB2_130 Depth=3
	s_or_b32 exec_lo, exec_lo, s9
	v_ashrrev_i32_e32 v83, 31, v82
	s_delay_alu instid0(VALU_DEP_1) | instskip(NEXT) | instid1(VALU_DEP_1)
	v_lshlrev_b64 v[86:87], 4, v[82:83]
	v_add_co_u32 v96, vcc_lo, v147, v86
	s_delay_alu instid0(VALU_DEP_2)
	v_add_co_ci_u32_e32 v97, vcc_lo, v148, v87, vcc_lo
	v_cmp_eq_u32_e32 vcc_lo, 0, v133
	;;#ASMSTART
	global_load_b128 v[19:22], v[96:97], off glc slc dlc
s_waitcnt vmcnt(0)

	;;#ASMEND
	s_and_saveexec_b32 s14, vcc_lo
	s_cbranch_execz .LBB2_129
; %bb.135:                              ;   in Loop: Header=BB2_130 Depth=3
	v_cmp_ne_u32_e64 s9, v64, v20
	v_cmp_ne_u32_e64 s10, v64, v22
	v_mov_b32_e32 v133, 0
	s_delay_alu instid0(VALU_DEP_2) | instskip(NEXT) | instid1(SALU_CYCLE_1)
	s_or_b32 s9, s9, s10
	s_and_saveexec_b32 s10, s9
	s_cbranch_execz .LBB2_128
; %bb.136:                              ;   in Loop: Header=BB2_130 Depth=3
	v_cndmask_b32_e64 v83, 0, 1, vcc_lo
	s_mov_b32 s15, 0
                                        ; implicit-def: $sgpr23
                                        ; implicit-def: $sgpr24
	s_branch .LBB2_138
.LBB2_137:                              ;   in Loop: Header=BB2_138 Depth=4
	s_or_b32 exec_lo, exec_lo, s25
	s_delay_alu instid0(SALU_CYCLE_1) | instskip(NEXT) | instid1(SALU_CYCLE_1)
	s_and_b32 s9, exec_lo, s9
	s_or_b32 s15, s9, s15
	s_and_not1_b32 s9, s23, exec_lo
	s_and_b32 s23, s24, exec_lo
	s_delay_alu instid0(SALU_CYCLE_1)
	s_or_b32 s23, s9, s23
	s_and_not1_b32 exec_lo, exec_lo, s15
	s_cbranch_execz .LBB2_127
.LBB2_138:                              ;   Parent Loop BB2_32 Depth=1
                                        ;     Parent Loop BB2_85 Depth=2
                                        ;       Parent Loop BB2_130 Depth=3
                                        ; =>      This Inner Loop Header: Depth=4
	s_delay_alu instid0(VALU_DEP_1)
	v_add_nc_u32_e32 v83, 1, v83
	v_mov_b32_e32 v133, 0
	s_mov_b32 s9, -1
	s_mov_b32 s26, -1
	s_mov_b32 s25, exec_lo
	;;#ASMSTART
	global_load_b128 v[19:22], v[96:97], off glc slc dlc
s_waitcnt vmcnt(0)

	;;#ASMEND
	v_cmpx_eq_u32_e32 0x2710, v83
	s_cbranch_execz .LBB2_144
; %bb.139:                              ;   in Loop: Header=BB2_138 Depth=4
	s_cbranch_execnz .LBB2_255
; %bb.140:                              ;   in Loop: Header=BB2_138 Depth=4
	ds_load_b64 v[163:164], v0
	v_mov_b32_e32 v83, 0
	v_mov_b32_e32 v133, 0
	s_mov_b32 s27, -1
	s_mov_b32 s26, exec_lo
	s_waitcnt vmcnt(0) lgkmcnt(0)
	s_waitcnt_vscnt null, 0x0
	flat_load_b32 v163, v[163:164] glc
	s_waitcnt vmcnt(0) lgkmcnt(0)
	buffer_gl1_inv
	buffer_gl0_inv
	v_cmpx_ne_u32_e32 0, v163
	s_cbranch_execz .LBB2_143
; %bb.141:                              ;   in Loop: Header=BB2_138 Depth=4
	ds_store_b32 v0, v163
	s_cbranch_execnz .LBB2_263
; %bb.142:                              ;   in Loop: Header=BB2_138 Depth=4
	v_mov_b32_e32 v133, 1
	s_xor_b32 s27, exec_lo, -1
.LBB2_143:                              ;   in Loop: Header=BB2_138 Depth=4
	s_or_b32 exec_lo, exec_lo, s26
	s_delay_alu instid0(SALU_CYCLE_1)
	s_or_not1_b32 s26, s27, exec_lo
.LBB2_144:                              ;   in Loop: Header=BB2_138 Depth=4
	s_or_b32 exec_lo, exec_lo, s25
	s_delay_alu instid0(SALU_CYCLE_1)
	s_or_b32 s24, s24, exec_lo
	s_and_saveexec_b32 s25, s26
	s_cbranch_execz .LBB2_137
; %bb.145:                              ;   in Loop: Header=BB2_138 Depth=4
	v_cmp_eq_u32_e32 vcc_lo, v64, v20
	v_cmp_eq_u32_e64 s9, v64, v22
	s_and_not1_b32 s24, s24, exec_lo
	s_delay_alu instid0(VALU_DEP_1) | instskip(NEXT) | instid1(SALU_CYCLE_1)
	s_and_b32 s9, vcc_lo, s9
	s_or_not1_b32 s9, s9, exec_lo
	s_branch .LBB2_137
.LBB2_146:                              ;   in Loop: Header=BB2_85 Depth=2
	s_or_b32 exec_lo, exec_lo, s13
.LBB2_147:                              ;   in Loop: Header=BB2_85 Depth=2
	s_delay_alu instid0(SALU_CYCLE_1)
	s_or_b32 exec_lo, exec_lo, s12
	s_and_saveexec_b32 s9, s3
	s_cbranch_execz .LBB2_169
; %bb.148:                              ;   in Loop: Header=BB2_85 Depth=2
	s_and_saveexec_b32 s10, s4
	s_delay_alu instid0(SALU_CYCLE_1)
	s_xor_b32 s10, exec_lo, s10
	s_cbranch_execz .LBB2_166
; %bb.149:                              ;   in Loop: Header=BB2_85 Depth=2
	s_and_saveexec_b32 s12, s6
	s_cbranch_execz .LBB2_165
; %bb.150:                              ;   in Loop: Header=BB2_85 Depth=2
	s_mov_b32 s14, exec_lo
	s_mov_b32 s13, exec_lo
	v_mbcnt_lo_u32_b32 v17, s14, 0
	s_waitcnt vmcnt(0) lgkmcnt(0)
	s_waitcnt_vscnt null, 0x0
	buffer_gl1_inv
	buffer_gl0_inv
	v_cmpx_eq_u32_e32 0, v17
	s_cbranch_execz .LBB2_152
; %bb.151:                              ;   in Loop: Header=BB2_85 Depth=2
	s_bcnt1_i32_b32 s14, s14
	s_delay_alu instid0(SALU_CYCLE_1)
	v_mov_b32_e32 v64, s14
	ds_add_u64 v0, v[64:65]
	s_cbranch_execnz .LBB2_298
.LBB2_152:                              ;   in Loop: Header=BB2_85 Depth=2
	s_or_b32 exec_lo, exec_lo, s13
	s_cbranch_execnz .LBB2_290
; %bb.153:                              ;   in Loop: Header=BB2_85 Depth=2
	ds_load_b64 v[17:18], v0
	v_add_co_u32 v2, vcc_lo, v2, v130
	v_add_co_ci_u32_e32 v3, vcc_lo, v3, v131, vcc_lo
	s_mov_b32 s13, exec_lo
	s_waitcnt lgkmcnt(0)
	s_delay_alu instid0(VALU_DEP_1)
	v_cmpx_lt_u64_e64 v[17:18], v[2:3]
	s_cbranch_execz .LBB2_164
; %bb.154:                              ;   in Loop: Header=BB2_85 Depth=2
	s_mov_b32 s14, 0
	s_mov_b32 s24, 0
                                        ; implicit-def: $sgpr15
                                        ; implicit-def: $sgpr23
	s_branch .LBB2_156
.LBB2_155:                              ;   in Loop: Header=BB2_156 Depth=3
	s_or_b32 exec_lo, exec_lo, s27
	s_delay_alu instid0(SALU_CYCLE_1) | instskip(NEXT) | instid1(SALU_CYCLE_1)
	s_and_b32 s25, exec_lo, s26
	s_or_b32 s14, s25, s14
	s_and_not1_b32 s15, s15, exec_lo
	s_and_b32 s25, s23, exec_lo
	s_delay_alu instid0(SALU_CYCLE_1)
	s_or_b32 s15, s15, s25
	s_and_not1_b32 exec_lo, exec_lo, s14
	s_cbranch_execz .LBB2_162
.LBB2_156:                              ;   Parent Loop BB2_32 Depth=1
                                        ;     Parent Loop BB2_85 Depth=2
                                        ; =>    This Inner Loop Header: Depth=3
	s_add_i32 s24, s24, 1
                                        ; implicit-def: $sgpr26
	s_delay_alu instid0(SALU_CYCLE_1) | instskip(SKIP_1) | instid1(SALU_CYCLE_1)
	s_cmpk_lg_i32 s24, 0x2710
	s_cselect_b32 s25, -1, 0
	s_and_b32 vcc_lo, exec_lo, s25
	s_cbranch_vccz .LBB2_160
.LBB2_157:                              ;   in Loop: Header=BB2_156 Depth=3
	s_and_not1_b32 s23, s23, exec_lo
	s_and_b32 s27, s26, exec_lo
	s_mov_b32 s26, -1
	s_or_b32 s23, s23, s27
	s_and_saveexec_b32 s27, s25
	s_cbranch_execz .LBB2_155
; %bb.158:                              ;   in Loop: Header=BB2_156 Depth=3
	s_sleep 1
	s_cbranch_execnz .LBB2_310
; %bb.159:                              ;   in Loop: Header=BB2_156 Depth=3
	ds_load_b64 v[17:18], v0
	s_and_not1_b32 s23, s23, exec_lo
	s_waitcnt lgkmcnt(0)
	v_cmp_ge_u64_e32 vcc_lo, v[17:18], v[2:3]
	s_or_not1_b32 s26, vcc_lo, exec_lo
	s_branch .LBB2_155
.LBB2_160:                              ;   in Loop: Header=BB2_156 Depth=3
	s_cbranch_execnz .LBB2_312
; %bb.161:                              ;   in Loop: Header=BB2_156 Depth=3
	ds_load_b64 v[17:18], v0
	s_and_not1_b32 s25, s25, exec_lo
	s_mov_b32 s24, 0
	s_mov_b32 s26, -1
	s_waitcnt lgkmcnt(0)
	flat_load_b32 v17, v[17:18] glc
	s_waitcnt vmcnt(0) lgkmcnt(0)
	buffer_gl1_inv
	buffer_gl0_inv
	v_cmp_eq_u32_e32 vcc_lo, 0, v17
	s_and_b32 s27, vcc_lo, exec_lo
	s_delay_alu instid0(SALU_CYCLE_1)
	s_or_b32 s25, s25, s27
	s_branch .LBB2_157
.LBB2_162:                              ;   in Loop: Header=BB2_85 Depth=2
	s_or_b32 exec_lo, exec_lo, s14
	s_and_saveexec_b32 s14, s15
	s_delay_alu instid0(SALU_CYCLE_1)
	s_xor_b32 s14, exec_lo, s14
	s_cbranch_execz .LBB2_164
; %bb.163:                              ;   in Loop: Header=BB2_85 Depth=2
	ds_store_b32 v0, v103
	s_cbranch_execnz .LBB2_331
.LBB2_164:                              ;   in Loop: Header=BB2_85 Depth=2
	s_or_b32 exec_lo, exec_lo, s13
	;;#ASMSTART
	s_wakeup
	;;#ASMEND
.LBB2_165:                              ;   in Loop: Header=BB2_85 Depth=2
	s_or_b32 exec_lo, exec_lo, s12
.LBB2_166:                              ;   in Loop: Header=BB2_85 Depth=2
	s_and_not1_saveexec_b32 s10, s10
	s_cbranch_execz .LBB2_168
; %bb.167:                              ;   in Loop: Header=BB2_85 Depth=2
	s_waitcnt vmcnt(0) lgkmcnt(0)
	s_waitcnt_vscnt null, 0x0
	buffer_gl1_inv
	buffer_gl0_inv
	s_barrier
.LBB2_168:                              ;   in Loop: Header=BB2_85 Depth=2
	s_or_b32 exec_lo, exec_lo, s10
.LBB2_169:                              ;   in Loop: Header=BB2_85 Depth=2
	s_delay_alu instid0(SALU_CYCLE_1)
	s_or_b32 exec_lo, exec_lo, s9
	s_and_saveexec_b32 s9, s5
	s_cbranch_execz .LBB2_171
; %bb.170:                              ;   in Loop: Header=BB2_85 Depth=2
	v_add_co_u32 v48, vcc_lo, v48, 1
	v_add_co_ci_u32_e32 v49, vcc_lo, 0, v49, vcc_lo
	s_waitcnt vmcnt(0) lgkmcnt(0)
	s_waitcnt_vscnt null, 0x0
	flat_store_b64 v[36:37], v[48:49]
.LBB2_171:                              ;   in Loop: Header=BB2_85 Depth=2
	s_or_b32 exec_lo, exec_lo, s9
	v_and_b32_e32 v64, 0x7ffffff8, v70
	v_cmp_gt_i32_e64 s9, s17, v82
	s_delay_alu instid0(VALU_DEP_2) | instskip(NEXT) | instid1(VALU_DEP_2)
	v_cmp_eq_u64_e32 vcc_lo, 0x7ffffff8, v[64:65]
	s_and_b32 s9, vcc_lo, s9
	s_delay_alu instid0(SALU_CYCLE_1)
	s_and_saveexec_b32 s10, s9
	s_cbranch_execz .LBB2_174
; %bb.172:                              ;   in Loop: Header=BB2_85 Depth=2
	v_and_b32_e32 v17, 7, v146
	v_ashrrev_i32_e32 v83, 31, v82
	v_mov_b32_e32 v21, v70
	s_mov_b32 s12, 0
	s_delay_alu instid0(VALU_DEP_3) | instskip(SKIP_2) | instid1(VALU_DEP_2)
	v_mul_lo_u32 v17, s17, v17
	s_waitcnt vmcnt(0) lgkmcnt(0)
	v_lshlrev_b64 v[19:20], 4, v[82:83]
	v_ashrrev_i32_e32 v18, 31, v17
	s_delay_alu instid0(VALU_DEP_1) | instskip(NEXT) | instid1(VALU_DEP_1)
	v_lshlrev_b64 v[17:18], 4, v[17:18]
	v_add_co_u32 v19, vcc_lo, v19, v17
	s_delay_alu instid0(VALU_DEP_2) | instskip(SKIP_2) | instid1(VALU_DEP_4)
	v_add_co_ci_u32_e32 v20, vcc_lo, v20, v18, vcc_lo
	v_add_co_u32 v17, vcc_lo, 0, 0
	v_add_co_ci_u32_e32 v18, vcc_lo, 1, v21, vcc_lo
	v_add_co_u32 v21, vcc_lo, v38, v19
	s_delay_alu instid0(VALU_DEP_4)
	v_add_co_ci_u32_e32 v22, vcc_lo, v39, v20, vcc_lo
.LBB2_173:                              ;   Parent Loop BB2_32 Depth=1
                                        ;     Parent Loop BB2_85 Depth=2
                                        ; =>    This Inner Loop Header: Depth=3
	s_delay_alu instid0(VALU_DEP_4) | instskip(NEXT) | instid1(VALU_DEP_4)
	v_dual_mov_b32 v19, v17 :: v_dual_add_nc_u32 v82, v82, v1
	v_mov_b32_e32 v20, v18
	s_delay_alu instid0(VALU_DEP_2) | instskip(SKIP_2) | instid1(VALU_DEP_1)
	v_cmp_le_i32_e32 vcc_lo, s17, v82
	global_store_b128 v[21:22], v[17:20], off
	v_add_co_u32 v21, s9, v21, v5
	v_add_co_ci_u32_e64 v22, s9, v22, v6, s9
	s_or_b32 s12, vcc_lo, s12
	s_delay_alu instid0(SALU_CYCLE_1)
	s_and_not1_b32 exec_lo, exec_lo, s12
	s_cbranch_execnz .LBB2_173
.LBB2_174:                              ;   in Loop: Header=BB2_85 Depth=2
	s_or_b32 exec_lo, exec_lo, s10
	v_add_co_u32 v32, vcc_lo, v32, 1
	v_add_co_ci_u32_e32 v33, vcc_lo, 0, v33, vcc_lo
	v_add_co_u32 v70, vcc_lo, v70, 1
	v_add_co_ci_u32_e32 v71, vcc_lo, 0, v71, vcc_lo
	v_add_nc_u16 v146, v146, 1
	s_add_i32 s11, s11, 1
	s_delay_alu instid0(SALU_CYCLE_1)
	s_cmp_eq_u32 s11, s16
	s_cbranch_scc0 .LBB2_85
.LBB2_175:                              ;   in Loop: Header=BB2_32 Depth=1
	s_delay_alu instid0(VALU_DEP_1)
	v_dual_mov_b32 v21, v70 :: v_dual_mov_b32 v22, v71
	s_and_saveexec_b32 s23, s8
	s_cbranch_execz .LBB2_215
; %bb.176:                              ;   in Loop: Header=BB2_32 Depth=1
	flat_load_b32 v64, v[23:24]
	v_and_b32_e32 v17, 7, v32
	s_waitcnt vmcnt(1) lgkmcnt(1)
	v_add_co_u32 v19, vcc_lo, v11, v144
	v_add_co_ci_u32_e32 v20, vcc_lo, v12, v145, vcc_lo
	s_delay_alu instid0(VALU_DEP_3) | instskip(SKIP_1) | instid1(VALU_DEP_1)
	v_mul_lo_u32 v17, v17, s17
	s_mov_b32 s24, 0
	v_ashrrev_i32_e32 v18, 31, v17
	s_delay_alu instid0(VALU_DEP_1)
	v_lshlrev_b64 v[17:18], 4, v[17:18]
	s_waitcnt vmcnt(0) lgkmcnt(0)
	v_ashrrev_i32_e32 v70, 31, v64
	v_mul_lo_u32 v82, v113, v64
	v_mad_u64_u32 v[80:81], null, v112, v64, v[19:20]
	v_add_nc_u32_e32 v64, 1, v32
	s_delay_alu instid0(VALU_DEP_4)
	v_mul_lo_u32 v19, v112, v70
	v_add_co_u32 v70, vcc_lo, v118, v144
	v_add_co_ci_u32_e32 v71, vcc_lo, v119, v145, vcc_lo
	v_add_co_u32 v83, vcc_lo, v29, v17
	v_add_co_ci_u32_e32 v84, vcc_lo, v30, v18, vcc_lo
	v_add3_u32 v19, v82, v81, v19
	v_add_co_u32 v85, vcc_lo, v80, v100
	v_mov_b32_e32 v80, v4
	s_delay_alu instid0(VALU_DEP_3)
	v_add_co_ci_u32_e32 v86, vcc_lo, v19, v114, vcc_lo
	s_branch .LBB2_178
.LBB2_177:                              ;   in Loop: Header=BB2_178 Depth=2
	v_sub_nc_u32_e32 v134, v134, v101
	v_add_co_u32 v85, vcc_lo, v85, v101
	v_add_co_ci_u32_e32 v86, vcc_lo, v86, v115, vcc_lo
	s_delay_alu instid0(VALU_DEP_3) | instskip(SKIP_1) | instid1(VALU_DEP_1)
	v_cmp_gt_i32_e32 vcc_lo, 1, v134
	v_add_co_u32 v70, s8, v70, v101
	v_add_co_ci_u32_e64 v71, s8, v71, v115, s8
	v_add_nc_u32_e32 v80, v80, v1
	s_or_b32 s24, vcc_lo, s24
	s_delay_alu instid0(SALU_CYCLE_1)
	s_and_not1_b32 exec_lo, exec_lo, s24
	s_cbranch_execz .LBB2_214
.LBB2_178:                              ;   Parent Loop BB2_32 Depth=1
                                        ; =>  This Loop Header: Depth=2
                                        ;       Child Loop BB2_186 Depth 3
	s_delay_alu instid0(VALU_DEP_1)
	v_dual_mov_b32 v18, v86 :: v_dual_and_b32 v17, -4, v85
	v_min_u32_e32 v19, 8, v134
	v_dual_mov_b32 v87, 0 :: v_dual_and_b32 v20, 3, v85
	v_mov_b32_e32 v97, 0
	flat_load_b32 v96, v[17:18] glc
	v_add_co_u32 v19, s8, v20, v19
	s_delay_alu instid0(VALU_DEP_1) | instskip(SKIP_1) | instid1(VALU_DEP_1)
	v_add_co_ci_u32_e64 v20, null, 0, 0, s8
	s_mov_b32 s8, exec_lo
	v_cmpx_lt_u64_e32 4, v[19:20]
	s_cbranch_execz .LBB2_180
; %bb.179:                              ;   in Loop: Header=BB2_178 Depth=2
	flat_load_b32 v97, v[17:18] offset:4 glc
.LBB2_180:                              ;   in Loop: Header=BB2_178 Depth=2
	s_or_b32 exec_lo, exec_lo, s8
	s_delay_alu instid0(SALU_CYCLE_1)
	s_mov_b32 s8, exec_lo
	v_cmpx_lt_u64_e32 8, v[19:20]
	s_cbranch_execz .LBB2_182
; %bb.181:                              ;   in Loop: Header=BB2_178 Depth=2
	flat_load_b32 v87, v[17:18] offset:8 glc
.LBB2_182:                              ;   in Loop: Header=BB2_178 Depth=2
	s_or_b32 exec_lo, exec_lo, s8
	v_ashrrev_i32_e32 v81, 31, v80
	s_delay_alu instid0(VALU_DEP_1) | instskip(NEXT) | instid1(VALU_DEP_1)
	v_lshlrev_b64 v[17:18], 4, v[80:81]
	v_add_co_u32 v81, vcc_lo, v83, v17
	s_delay_alu instid0(VALU_DEP_2)
	v_add_co_ci_u32_e32 v82, vcc_lo, v84, v18, vcc_lo
	v_cmp_eq_u32_e32 vcc_lo, 0, v133
	;;#ASMSTART
	global_load_b128 v[17:20], v[81:82], off glc slc dlc
s_waitcnt vmcnt(0)

	;;#ASMEND
	s_and_saveexec_b32 s10, vcc_lo
	s_cbranch_execz .LBB2_196
; %bb.183:                              ;   in Loop: Header=BB2_178 Depth=2
	v_cmp_ne_u32_e64 s8, v64, v18
	v_cmp_ne_u32_e64 s9, v64, v20
	v_mov_b32_e32 v133, 0
	s_delay_alu instid0(VALU_DEP_2) | instskip(NEXT) | instid1(SALU_CYCLE_1)
	s_or_b32 s8, s8, s9
	s_and_saveexec_b32 s9, s8
	s_cbranch_execz .LBB2_195
; %bb.184:                              ;   in Loop: Header=BB2_178 Depth=2
	v_cndmask_b32_e64 v135, 0, 1, vcc_lo
	s_mov_b32 s11, 0
                                        ; implicit-def: $sgpr12
                                        ; implicit-def: $sgpr13
	s_branch .LBB2_186
.LBB2_185:                              ;   in Loop: Header=BB2_186 Depth=3
	s_or_b32 exec_lo, exec_lo, s14
	s_delay_alu instid0(SALU_CYCLE_1) | instskip(NEXT) | instid1(SALU_CYCLE_1)
	s_and_b32 s8, exec_lo, s8
	s_or_b32 s11, s8, s11
	s_and_not1_b32 s8, s12, exec_lo
	s_and_b32 s12, s13, exec_lo
	s_delay_alu instid0(SALU_CYCLE_1)
	s_or_b32 s12, s8, s12
	s_and_not1_b32 exec_lo, exec_lo, s11
	s_cbranch_execz .LBB2_194
.LBB2_186:                              ;   Parent Loop BB2_32 Depth=1
                                        ;     Parent Loop BB2_178 Depth=2
                                        ; =>    This Inner Loop Header: Depth=3
	s_delay_alu instid0(VALU_DEP_1)
	v_add_nc_u32_e32 v135, 1, v135
	v_mov_b32_e32 v133, 0
	s_mov_b32 s8, -1
	s_mov_b32 s15, -1
	s_mov_b32 s14, exec_lo
	;;#ASMSTART
	global_load_b128 v[17:20], v[81:82], off glc slc dlc
s_waitcnt vmcnt(0)

	;;#ASMEND
	v_cmpx_eq_u32_e32 0x2710, v135
	s_cbranch_execz .LBB2_192
; %bb.187:                              ;   in Loop: Header=BB2_186 Depth=3
	s_cbranch_execnz .LBB2_257
; %bb.188:                              ;   in Loop: Header=BB2_186 Depth=3
	ds_load_b64 v[144:145], v0
	v_mov_b32_e32 v135, 0
	v_mov_b32_e32 v133, 0
	s_mov_b32 s25, -1
	s_mov_b32 s15, exec_lo
	s_waitcnt vmcnt(0) lgkmcnt(0)
	s_waitcnt_vscnt null, 0x0
	flat_load_b32 v144, v[144:145] glc
	s_waitcnt vmcnt(0) lgkmcnt(0)
	buffer_gl1_inv
	buffer_gl0_inv
	v_cmpx_ne_u32_e32 0, v144
	s_cbranch_execz .LBB2_191
; %bb.189:                              ;   in Loop: Header=BB2_186 Depth=3
	ds_store_b32 v0, v144
	s_cbranch_execnz .LBB2_269
; %bb.190:                              ;   in Loop: Header=BB2_186 Depth=3
	v_mov_b32_e32 v133, 1
	s_xor_b32 s25, exec_lo, -1
.LBB2_191:                              ;   in Loop: Header=BB2_186 Depth=3
	s_or_b32 exec_lo, exec_lo, s15
	s_delay_alu instid0(SALU_CYCLE_1)
	s_or_not1_b32 s15, s25, exec_lo
.LBB2_192:                              ;   in Loop: Header=BB2_186 Depth=3
	s_or_b32 exec_lo, exec_lo, s14
	s_delay_alu instid0(SALU_CYCLE_1)
	s_or_b32 s13, s13, exec_lo
	s_and_saveexec_b32 s14, s15
	s_cbranch_execz .LBB2_185
; %bb.193:                              ;   in Loop: Header=BB2_186 Depth=3
	v_cmp_eq_u32_e32 vcc_lo, v64, v18
	v_cmp_eq_u32_e64 s8, v64, v20
	s_and_not1_b32 s13, s13, exec_lo
	s_delay_alu instid0(VALU_DEP_1) | instskip(NEXT) | instid1(SALU_CYCLE_1)
	s_and_b32 s8, vcc_lo, s8
	s_or_not1_b32 s8, s8, exec_lo
	s_branch .LBB2_185
.LBB2_194:                              ;   in Loop: Header=BB2_178 Depth=2
	s_or_b32 exec_lo, exec_lo, s11
	s_xor_b32 s8, s12, -1
	s_delay_alu instid0(SALU_CYCLE_1) | instskip(NEXT) | instid1(SALU_CYCLE_1)
	s_and_saveexec_b32 s11, s8
	s_xor_b32 s8, exec_lo, s11
	s_delay_alu instid0(SALU_CYCLE_1) | instskip(NEXT) | instid1(SALU_CYCLE_1)
	s_and_not1_saveexec_b32 s8, s8
	s_or_b32 exec_lo, exec_lo, s8
.LBB2_195:                              ;   in Loop: Header=BB2_178 Depth=2
	s_delay_alu instid0(SALU_CYCLE_1)
	s_or_b32 exec_lo, exec_lo, s9
.LBB2_196:                              ;   in Loop: Header=BB2_178 Depth=2
	s_delay_alu instid0(SALU_CYCLE_1) | instskip(SKIP_4) | instid1(VALU_DEP_3)
	s_or_b32 exec_lo, exec_lo, s10
	v_lshlrev_b32_e32 v18, 3, v85
	v_and_b32_e32 v81, 0xff00ff, v17
	v_and_b32_e32 v17, 0xff00ff00, v17
	s_waitcnt vmcnt(0) lgkmcnt(0)
	v_alignbit_b32 v20, v97, v96, v18
	v_alignbit_b32 v18, v87, v97, v18
	s_delay_alu instid0(VALU_DEP_2) | instskip(SKIP_1) | instid1(VALU_DEP_3)
	v_and_b32_e32 v82, 0xff00ff, v20
	v_and_b32_e32 v20, 0xff00ff00, v20
	v_and_b32_e32 v87, 0xff00ff, v18
	v_and_b32_e32 v18, 0xff00ff00, v18
	s_delay_alu instid0(VALU_DEP_4) | instskip(NEXT) | instid1(VALU_DEP_4)
	v_add_co_u32 v81, null, v81, v82
	v_add_nc_u32_e32 v17, v17, v20
	v_and_b32_e32 v20, 0xff00ff, v19
	v_and_b32_e32 v19, 0xff00ff00, v19
	s_delay_alu instid0(VALU_DEP_4)
	v_bfe_i32 v82, v81, 0, 8
	v_lshrrev_b32_e32 v97, 16, v81
	v_perm_b32 v96, v17, v81, 0x7020500
	v_lshrrev_b32_e32 v144, 8, v17
	v_add_co_u32 v20, null, v20, v87
	v_cmp_gt_i16_e32 vcc_lo, 0, v82
	s_delay_alu instid0(VALU_DEP_4)
	v_and_b32_e32 v135, 0x8000, v96
	v_sub_nc_u16 v82, 0, v81
	v_bfe_i32 v145, v97, 0, 8
	v_add_nc_u32_e32 v18, v19, v18
	s_and_b32 vcc_lo, s7, vcc_lo
	v_cmp_ne_u32_e64 s8, 0, v135
	v_cndmask_b32_e32 v81, v81, v82, vcc_lo
	v_sub_nc_u16 v82, 0, v144
	v_cmp_gt_i16_e64 s9, 0, v145
	v_sub_nc_u16 v135, 0, v97
	s_and_b32 s8, s7, s8
	v_and_b32_e32 v81, 0xff, v81
	v_cndmask_b32_e64 v82, v144, v82, s8
	s_and_b32 s9, s7, s9
	v_and_b32_e32 v19, v98, v96
	v_cndmask_b32_e64 v97, v97, v135, s9
	v_mul_hi_u32 v87, v81, v132
	v_and_b32_e32 v82, 0xff, v82
	v_lshrrev_b32_e32 v17, 24, v17
	v_cmp_lt_i32_e64 s10, -1, v19
	v_and_b32_e32 v96, 0xff, v97
	v_bfe_i32 v146, v20, 0, 8
	v_mul_hi_u32 v97, v82, v132
	v_sub_nc_u16 v144, 0, v17
	v_mul_lo_u32 v135, v99, v87
	v_mul_hi_u32 v147, v96, v132
	v_cmp_gt_i16_e64 s11, 0, v146
	v_perm_b32 v145, v18, v20, 0x7020500
	v_cndmask_b32_e64 v17, v144, v17, s10
	v_lshrrev_b32_e32 v146, 8, v18
	v_mul_lo_u32 v19, v99, v97
	s_and_b32 s11, s7, s11
	v_sub_nc_u32_e32 v81, v81, v135
	v_mul_lo_u32 v144, v99, v147
	v_and_b32_e32 v17, 0xff, v17
	v_sub_nc_u16 v135, 0, v20
	v_lshrrev_b32_e32 v18, 24, v18
	v_cmp_ge_u32_e64 s12, v81, v99
	v_sub_nc_u32_e32 v19, v82, v19
	s_delay_alu instid0(VALU_DEP_4) | instskip(SKIP_1) | instid1(VALU_DEP_4)
	v_cndmask_b32_e64 v82, v20, v135, s11
	v_sub_nc_u32_e32 v96, v96, v144
	v_add_co_ci_u32_e64 v81, s12, 0, v87, s12
	s_delay_alu instid0(VALU_DEP_4)
	v_cmp_ge_u32_e64 s12, v19, v99
	v_mul_hi_u32 v87, v17, v132
	v_lshrrev_b32_e32 v20, 16, v20
	v_and_b32_e32 v82, 0xff, v82
	v_sub_nc_u16 v149, 0, v18
	v_add_co_ci_u32_e64 v19, s12, 0, v97, s12
	v_cmp_ge_u32_e64 s12, v96, v99
	v_and_b32_e32 v97, 0x8000, v145
	v_mul_lo_u32 v144, v99, v87
	v_mul_hi_u32 v148, v82, v132
	v_and_b32_e32 v145, v98, v145
	v_add_co_ci_u32_e64 v96, s12, 0, v147, s12
	v_bfe_i32 v147, v20, 0, 8
	v_cmp_ne_u32_e64 s12, 0, v97
	v_sub_nc_u16 v97, 0, v146
	v_sub_nc_u32_e32 v17, v17, v144
	v_cmp_lt_i32_e64 s14, -1, v145
	v_cmp_gt_i16_e64 s13, 0, v147
	s_and_b32 s12, s7, s12
	v_sub_nc_u16 v147, 0, v20
	v_cndmask_b32_e64 v97, v146, v97, s12
	v_cmp_ge_u32_e64 s15, v17, v99
	s_and_b32 s13, s7, s13
	v_mul_lo_u32 v144, v99, v148
	v_cndmask_b32_e64 v20, v20, v147, s13
	v_and_b32_e32 v97, 0xff, v97
	v_cndmask_b32_e64 v18, v149, v18, s14
	v_sub_nc_u32_e32 v135, 0, v81
	s_delay_alu instid0(VALU_DEP_4) | instskip(SKIP_1) | instid1(VALU_DEP_3)
	v_and_b32_e32 v145, 0xff, v20
	v_add_co_ci_u32_e64 v20, s15, 0, v87, s15
	v_cndmask_b32_e32 v17, v81, v135, vcc_lo
	v_mul_hi_u32 v87, v97, v132
	s_delay_alu instid0(VALU_DEP_4)
	v_mul_hi_u32 v147, v145, v132
	v_and_b32_e32 v146, 0xff, v18
	v_sub_nc_u32_e32 v82, v82, v144
	v_sub_nc_u32_e32 v18, 0, v19
	;; [unrolled: 1-line block ×4, first 2 shown]
	v_mul_hi_u32 v149, v146, v132
	v_mul_lo_u32 v144, v99, v87
	v_mul_lo_u32 v150, v99, v147
	v_cmp_ge_u32_e32 vcc_lo, v82, v99
	v_cndmask_b32_e64 v18, v19, v18, s8
	v_cndmask_b32_e64 v19, v96, v81, s9
	;; [unrolled: 1-line block ×3, first 2 shown]
	v_mul_lo_u32 v151, v99, v149
	v_sub_nc_u32_e32 v81, v97, v144
	v_add_co_ci_u32_e32 v82, vcc_lo, 0, v148, vcc_lo
	v_sub_nc_u32_e32 v97, v145, v150
	s_delay_alu instid0(VALU_DEP_3) | instskip(NEXT) | instid1(VALU_DEP_3)
	v_cmp_ge_u32_e32 vcc_lo, v81, v99
	v_sub_nc_u32_e32 v96, 0, v82
	v_sub_nc_u32_e32 v135, v146, v151
	v_add_co_ci_u32_e32 v87, vcc_lo, 0, v87, vcc_lo
	v_cmp_ge_u32_e32 vcc_lo, v97, v99
	s_delay_alu instid0(VALU_DEP_4) | instskip(NEXT) | instid1(VALU_DEP_3)
	v_cndmask_b32_e64 v81, v82, v96, s11
	v_sub_nc_u32_e32 v82, 0, v87
	v_add_co_ci_u32_e32 v97, vcc_lo, 0, v147, vcc_lo
	v_cmp_ge_u32_e32 vcc_lo, v135, v99
	s_delay_alu instid0(VALU_DEP_3) | instskip(NEXT) | instid1(VALU_DEP_3)
	v_cndmask_b32_e64 v82, v87, v82, s12
	v_sub_nc_u32_e32 v96, 0, v97
	v_add_co_ci_u32_e32 v135, vcc_lo, 0, v149, vcc_lo
	v_cmp_lt_u32_e32 vcc_lo, 7, v134
	s_delay_alu instid0(VALU_DEP_3) | instskip(NEXT) | instid1(VALU_DEP_3)
	v_cndmask_b32_e64 v96, v97, v96, s13
	v_sub_nc_u32_e32 v145, 0, v135
	v_cndmask_b32_e64 v144, 0, 1, vcc_lo
	;;#ASMSTART
	;;#ASMEND
	s_delay_alu instid0(VALU_DEP_1) | instskip(NEXT) | instid1(VALU_DEP_3)
	v_cmp_ne_u32_e64 s8, 0, v144
	v_cndmask_b32_e64 v87, v145, v135, s14
	s_delay_alu instid0(VALU_DEP_2)
	s_cmp_lg_u32 s8, exec_lo
	s_mov_b32 s8, -1
	s_cbranch_scc0 .LBB2_212
; %bb.197:                              ;   in Loop: Header=BB2_178 Depth=2
	s_mov_b32 s9, exec_lo
	flat_store_b8 v[70:71], v17
	v_cmpx_ne_u32_e32 1, v134
	s_cbranch_execz .LBB2_199
; %bb.198:                              ;   in Loop: Header=BB2_178 Depth=2
	flat_store_b8 v[70:71], v18 offset:1
.LBB2_199:                              ;   in Loop: Header=BB2_178 Depth=2
	s_or_b32 exec_lo, exec_lo, s9
	s_delay_alu instid0(SALU_CYCLE_1)
	s_mov_b32 s9, exec_lo
	v_cmpx_lt_u32_e32 2, v134
	s_cbranch_execz .LBB2_201
; %bb.200:                              ;   in Loop: Header=BB2_178 Depth=2
	flat_store_b8 v[70:71], v19 offset:2
.LBB2_201:                              ;   in Loop: Header=BB2_178 Depth=2
	s_or_b32 exec_lo, exec_lo, s9
	s_delay_alu instid0(SALU_CYCLE_1)
	s_mov_b32 s9, exec_lo
	v_cmpx_lt_u32_e32 3, v134
	;; [unrolled: 8-line block ×5, first 2 shown]
	s_cbranch_execz .LBB2_209
; %bb.208:                              ;   in Loop: Header=BB2_178 Depth=2
	flat_store_b8 v[70:71], v96 offset:6
.LBB2_209:                              ;   in Loop: Header=BB2_178 Depth=2
	s_or_b32 exec_lo, exec_lo, s9
	s_and_saveexec_b32 s8, vcc_lo
	s_cbranch_execz .LBB2_211
; %bb.210:                              ;   in Loop: Header=BB2_178 Depth=2
	flat_store_b8 v[70:71], v87 offset:7
.LBB2_211:                              ;   in Loop: Header=BB2_178 Depth=2
	s_or_b32 exec_lo, exec_lo, s8
	s_mov_b32 s8, 0
.LBB2_212:                              ;   in Loop: Header=BB2_178 Depth=2
	s_delay_alu instid0(SALU_CYCLE_1)
	s_and_b32 vcc_lo, exec_lo, s8
	s_cbranch_vccz .LBB2_177
; %bb.213:                              ;   in Loop: Header=BB2_178 Depth=2
	v_perm_b32 v19, v20, v19, 0x6050400
	v_and_b32_e32 v20, 0xff, v96
	v_lshlrev_b32_e32 v82, 8, v82
	v_lshlrev_b32_e32 v18, 8, v18
	;; [unrolled: 1-line block ×3, first 2 shown]
	v_perm_b32 v17, v19, v17, 0x5040c00
	v_lshlrev_b32_e32 v19, 16, v20
	v_perm_b32 v20, v82, v81, 0xc0c0500
	s_delay_alu instid0(VALU_DEP_3) | instskip(NEXT) | instid1(VALU_DEP_2)
	v_and_or_b32 v17, 0xff00, v18, v17
	v_or3_b32 v18, v87, v19, v20
	global_store_b64 v[70:71], v[17:18], off
	s_branch .LBB2_177
.LBB2_214:                              ;   in Loop: Header=BB2_32 Depth=1
	s_or_b32 exec_lo, exec_lo, s24
.LBB2_215:                              ;   in Loop: Header=BB2_32 Depth=1
	s_delay_alu instid0(SALU_CYCLE_1)
	s_or_b32 exec_lo, exec_lo, s23
	s_and_saveexec_b32 s8, s3
	s_cbranch_execz .LBB2_237
; %bb.216:                              ;   in Loop: Header=BB2_32 Depth=1
	s_and_saveexec_b32 s9, s4
	s_delay_alu instid0(SALU_CYCLE_1)
	s_xor_b32 s9, exec_lo, s9
	s_cbranch_execz .LBB2_234
; %bb.217:                              ;   in Loop: Header=BB2_32 Depth=1
	s_and_saveexec_b32 s10, s6
	s_cbranch_execz .LBB2_233
; %bb.218:                              ;   in Loop: Header=BB2_32 Depth=1
	s_mov_b32 s12, exec_lo
	s_mov_b32 s11, exec_lo
	v_mbcnt_lo_u32_b32 v17, s12, 0
	s_waitcnt vmcnt(0) lgkmcnt(0)
	s_waitcnt_vscnt null, 0x0
	buffer_gl1_inv
	buffer_gl0_inv
	v_cmpx_eq_u32_e32 0, v17
	s_cbranch_execz .LBB2_220
; %bb.219:                              ;   in Loop: Header=BB2_32 Depth=1
	s_bcnt1_i32_b32 s12, s12
	s_delay_alu instid0(SALU_CYCLE_1)
	v_mov_b32_e32 v64, s12
	ds_add_u64 v0, v[64:65]
	s_cbranch_execnz .LBB2_306
.LBB2_220:                              ;   in Loop: Header=BB2_32 Depth=1
	s_or_b32 exec_lo, exec_lo, s11
	s_cbranch_execnz .LBB2_294
; %bb.221:                              ;   in Loop: Header=BB2_32 Depth=1
	ds_load_b64 v[17:18], v0
	v_add_co_u32 v2, vcc_lo, v2, v130
	v_add_co_ci_u32_e32 v3, vcc_lo, v3, v131, vcc_lo
	s_mov_b32 s11, exec_lo
	s_waitcnt lgkmcnt(0)
	s_delay_alu instid0(VALU_DEP_1)
	v_cmpx_lt_u64_e64 v[17:18], v[2:3]
	s_cbranch_execz .LBB2_232
; %bb.222:                              ;   in Loop: Header=BB2_32 Depth=1
	s_mov_b32 s12, 0
	s_mov_b32 s15, 0
                                        ; implicit-def: $sgpr13
                                        ; implicit-def: $sgpr14
	s_branch .LBB2_224
.LBB2_223:                              ;   in Loop: Header=BB2_224 Depth=2
	s_or_b32 exec_lo, exec_lo, s25
	s_delay_alu instid0(SALU_CYCLE_1) | instskip(NEXT) | instid1(SALU_CYCLE_1)
	s_and_b32 s23, exec_lo, s24
	s_or_b32 s12, s23, s12
	s_and_not1_b32 s13, s13, exec_lo
	s_and_b32 s23, s14, exec_lo
	s_delay_alu instid0(SALU_CYCLE_1)
	s_or_b32 s13, s13, s23
	s_and_not1_b32 exec_lo, exec_lo, s12
	s_cbranch_execz .LBB2_230
.LBB2_224:                              ;   Parent Loop BB2_32 Depth=1
                                        ; =>  This Inner Loop Header: Depth=2
	s_add_i32 s15, s15, 1
                                        ; implicit-def: $sgpr24
	s_delay_alu instid0(SALU_CYCLE_1) | instskip(SKIP_1) | instid1(SALU_CYCLE_1)
	s_cmpk_lg_i32 s15, 0x2710
	s_cselect_b32 s23, -1, 0
	s_and_b32 vcc_lo, exec_lo, s23
	s_cbranch_vccz .LBB2_228
.LBB2_225:                              ;   in Loop: Header=BB2_224 Depth=2
	s_and_not1_b32 s14, s14, exec_lo
	s_and_b32 s25, s24, exec_lo
	s_mov_b32 s24, -1
	s_or_b32 s14, s14, s25
	s_and_saveexec_b32 s25, s23
	s_cbranch_execz .LBB2_223
; %bb.226:                              ;   in Loop: Header=BB2_224 Depth=2
	s_sleep 1
	s_cbranch_execnz .LBB2_314
; %bb.227:                              ;   in Loop: Header=BB2_224 Depth=2
	ds_load_b64 v[17:18], v0
	s_and_not1_b32 s14, s14, exec_lo
	s_waitcnt lgkmcnt(0)
	v_cmp_ge_u64_e32 vcc_lo, v[17:18], v[2:3]
	s_or_not1_b32 s24, vcc_lo, exec_lo
	s_branch .LBB2_223
.LBB2_228:                              ;   in Loop: Header=BB2_224 Depth=2
	s_cbranch_execnz .LBB2_316
; %bb.229:                              ;   in Loop: Header=BB2_224 Depth=2
	ds_load_b64 v[17:18], v0
	s_and_not1_b32 s23, s23, exec_lo
	s_mov_b32 s15, 0
	s_mov_b32 s24, -1
	s_waitcnt lgkmcnt(0)
	flat_load_b32 v17, v[17:18] glc
	s_waitcnt vmcnt(0) lgkmcnt(0)
	buffer_gl1_inv
	buffer_gl0_inv
	v_cmp_eq_u32_e32 vcc_lo, 0, v17
	s_and_b32 s25, vcc_lo, exec_lo
	s_delay_alu instid0(SALU_CYCLE_1)
	s_or_b32 s23, s23, s25
	s_branch .LBB2_225
.LBB2_230:                              ;   in Loop: Header=BB2_32 Depth=1
	s_or_b32 exec_lo, exec_lo, s12
	s_and_saveexec_b32 s12, s13
	s_delay_alu instid0(SALU_CYCLE_1)
	s_xor_b32 s12, exec_lo, s12
	s_cbranch_execz .LBB2_232
; %bb.231:                              ;   in Loop: Header=BB2_32 Depth=1
	ds_store_b32 v0, v103
	s_cbranch_execnz .LBB2_333
.LBB2_232:                              ;   in Loop: Header=BB2_32 Depth=1
	s_or_b32 exec_lo, exec_lo, s11
	;;#ASMSTART
	s_wakeup
	;;#ASMEND
.LBB2_233:                              ;   in Loop: Header=BB2_32 Depth=1
	s_or_b32 exec_lo, exec_lo, s10
.LBB2_234:                              ;   in Loop: Header=BB2_32 Depth=1
	s_and_not1_saveexec_b32 s9, s9
	s_cbranch_execz .LBB2_236
; %bb.235:                              ;   in Loop: Header=BB2_32 Depth=1
	s_waitcnt vmcnt(0) lgkmcnt(0)
	s_waitcnt_vscnt null, 0x0
	buffer_gl1_inv
	buffer_gl0_inv
	s_barrier
.LBB2_236:                              ;   in Loop: Header=BB2_32 Depth=1
	s_or_b32 exec_lo, exec_lo, s9
.LBB2_237:                              ;   in Loop: Header=BB2_32 Depth=1
	s_delay_alu instid0(SALU_CYCLE_1)
	s_or_b32 exec_lo, exec_lo, s8
	s_and_saveexec_b32 s8, s5
	s_cbranch_execz .LBB2_239
; %bb.238:                              ;   in Loop: Header=BB2_32 Depth=1
	v_add_co_u32 v48, vcc_lo, v48, 1
	v_add_co_ci_u32_e32 v49, vcc_lo, 0, v49, vcc_lo
	s_waitcnt vmcnt(0) lgkmcnt(0)
	s_waitcnt_vscnt null, 0x0
	flat_store_b64 v[36:37], v[48:49]
.LBB2_239:                              ;   in Loop: Header=BB2_32 Depth=1
	s_or_b32 exec_lo, exec_lo, s8
	v_add_co_u32 v66, vcc_lo, v66, v54
	v_add_co_ci_u32_e32 v67, vcc_lo, 0, v67, vcc_lo
	v_add_co_u32 v32, vcc_lo, v32, 1
	v_add_co_ci_u32_e32 v33, vcc_lo, 0, v33, vcc_lo
	s_delay_alu instid0(VALU_DEP_3) | instskip(SKIP_1) | instid1(VALU_DEP_1)
	v_cmp_ge_u64_e32 vcc_lo, v[66:67], v[7:8]
	v_add_co_u32 v9, s8, v9, v54
	v_add_co_ci_u32_e64 v10, s8, 0, v10, s8
	s_or_b32 s21, vcc_lo, s21
	s_delay_alu instid0(SALU_CYCLE_1)
	s_and_not1_b32 exec_lo, exec_lo, s21
	s_cbranch_execnz .LBB2_32
; %bb.240:
	s_or_b32 exec_lo, exec_lo, s21
.LBB2_241:
	s_delay_alu instid0(SALU_CYCLE_1)
	s_or_b32 exec_lo, exec_lo, s19
	s_and_saveexec_b32 s1, s18
	s_cbranch_execz .LBB2_243
; %bb.242:
	s_waitcnt vmcnt(0) lgkmcnt(0)
	flat_store_b64 v[27:28], v[48:49] offset:104
.LBB2_243:
	s_or_b32 exec_lo, exec_lo, s1
	s_and_saveexec_b32 s1, s0
	s_cbranch_execz .LBB2_245
; %bb.244:
	s_waitcnt vmcnt(0) lgkmcnt(0)
	flat_store_b64 v[34:35], v[15:16] offset:104
.LBB2_245:
	s_or_b32 exec_lo, exec_lo, s1
	s_delay_alu instid0(SALU_CYCLE_1)
	s_mov_b32 s0, exec_lo
	v_cmpx_ne_u32_e32 32, v1
	s_cbranch_execz .LBB2_324
; %bb.246:
	s_mov_b32 s1, exec_lo
	v_cmpx_ne_u32_e64 v0, v1
	s_xor_b32 s1, exec_lo, s1
	s_cbranch_execz .LBB2_322
; %bb.247:
	v_and_b32_e32 v0, 31, v31
	s_mov_b32 s2, exec_lo
	s_delay_alu instid0(VALU_DEP_1)
	v_cmpx_eq_u32_e32 0, v0
	s_cbranch_execz .LBB2_321
; %bb.248:
	s_mov_b32 s4, exec_lo
	s_mov_b32 s3, exec_lo
	v_mbcnt_lo_u32_b32 v0, s4, 0
	s_waitcnt vmcnt(0) lgkmcnt(0)
	s_waitcnt_vscnt null, 0x0
	buffer_gl1_inv
	buffer_gl0_inv
	v_cmpx_eq_u32_e32 0, v0
	s_cbranch_execz .LBB2_250
; %bb.249:
	s_bcnt1_i32_b32 s4, s4
	s_delay_alu instid0(SALU_CYCLE_1)
	v_dual_mov_b32 v5, 0 :: v_dual_mov_b32 v4, s4
	ds_add_u64 v0, v[4:5]
	s_cbranch_execnz .LBB2_282
.LBB2_250:
	s_or_b32 exec_lo, exec_lo, s3
	s_cbranch_execnz .LBB2_267
; %bb.251:
	v_ashrrev_i32_e32 v0, 31, v1
	s_mov_b32 s3, exec_lo
	s_delay_alu instid0(VALU_DEP_1) | instskip(NEXT) | instid1(VALU_DEP_1)
	v_lshrrev_b32_e32 v0, 27, v0
	v_add_nc_u32_e32 v0, v1, v0
	ds_load_b64 v[4:5], v0
	v_ashrrev_i32_e32 v0, 5, v0
	s_delay_alu instid0(VALU_DEP_1) | instskip(SKIP_1) | instid1(VALU_DEP_2)
	v_ashrrev_i32_e32 v1, 31, v0
	v_add_co_u32 v0, vcc_lo, v2, v0
	v_add_co_ci_u32_e32 v1, vcc_lo, v3, v1, vcc_lo
	s_waitcnt lgkmcnt(0)
	s_delay_alu instid0(VALU_DEP_1)
	v_cmpx_lt_u64_e64 v[4:5], v[0:1]
	s_cbranch_execz .LBB2_320
; %bb.252:
	s_mov_b32 s4, 0
	s_mov_b32 s7, 0
                                        ; implicit-def: $sgpr5
                                        ; implicit-def: $sgpr6
	s_branch .LBB2_272
.LBB2_253:
	s_trap 2
	s_sendmsg_rtn_b32 s0, sendmsg(MSG_RTN_GET_DOORBELL)
	s_mov_b32 ttmp2, m0
	s_waitcnt lgkmcnt(0)
	s_and_b32 s0, s0, 0x3ff
	s_delay_alu instid0(SALU_CYCLE_1) | instskip(NEXT) | instid1(SALU_CYCLE_1)
	s_bitset1_b32 s0, 10
	s_mov_b32 m0, s0
	s_sendmsg sendmsg(MSG_INTERRUPT)
	s_mov_b32 m0, ttmp2
.LBB2_254:                              ; =>This Inner Loop Header: Depth=1
	s_sethalt 5
	s_branch .LBB2_254
.LBB2_255:
	s_trap 2
	s_sendmsg_rtn_b32 s0, sendmsg(MSG_RTN_GET_DOORBELL)
	s_mov_b32 ttmp2, m0
	s_waitcnt lgkmcnt(0)
	s_and_b32 s0, s0, 0x3ff
	s_delay_alu instid0(SALU_CYCLE_1) | instskip(NEXT) | instid1(SALU_CYCLE_1)
	s_bitset1_b32 s0, 10
	s_mov_b32 m0, s0
	s_sendmsg sendmsg(MSG_INTERRUPT)
	s_mov_b32 m0, ttmp2
.LBB2_256:                              ; =>This Inner Loop Header: Depth=1
	s_sethalt 5
	s_branch .LBB2_256
.LBB2_257:
	s_trap 2
	s_sendmsg_rtn_b32 s0, sendmsg(MSG_RTN_GET_DOORBELL)
	s_mov_b32 ttmp2, m0
	s_waitcnt lgkmcnt(0)
	s_and_b32 s0, s0, 0x3ff
	s_delay_alu instid0(SALU_CYCLE_1) | instskip(NEXT) | instid1(SALU_CYCLE_1)
	s_bitset1_b32 s0, 10
	s_mov_b32 m0, s0
	s_sendmsg sendmsg(MSG_INTERRUPT)
	s_mov_b32 m0, ttmp2
.LBB2_258:                              ; =>This Inner Loop Header: Depth=1
	s_sethalt 5
	s_branch .LBB2_258
.LBB2_259:
	s_trap 2
	s_sendmsg_rtn_b32 s0, sendmsg(MSG_RTN_GET_DOORBELL)
	s_mov_b32 ttmp2, m0
	s_waitcnt lgkmcnt(0)
	s_and_b32 s0, s0, 0x3ff
	s_delay_alu instid0(SALU_CYCLE_1) | instskip(NEXT) | instid1(SALU_CYCLE_1)
	s_bitset1_b32 s0, 10
	s_mov_b32 m0, s0
	s_sendmsg sendmsg(MSG_INTERRUPT)
	s_mov_b32 m0, ttmp2
.LBB2_260:                              ; =>This Inner Loop Header: Depth=1
	s_sethalt 5
	s_branch .LBB2_260
.LBB2_261:
	s_trap 2
	s_sendmsg_rtn_b32 s0, sendmsg(MSG_RTN_GET_DOORBELL)
	s_mov_b32 ttmp2, m0
	s_waitcnt lgkmcnt(0)
	s_and_b32 s0, s0, 0x3ff
	s_delay_alu instid0(SALU_CYCLE_1) | instskip(NEXT) | instid1(SALU_CYCLE_1)
	s_bitset1_b32 s0, 10
	s_mov_b32 m0, s0
	s_sendmsg sendmsg(MSG_INTERRUPT)
	s_mov_b32 m0, ttmp2
.LBB2_262:                              ; =>This Inner Loop Header: Depth=1
	s_sethalt 5
	s_branch .LBB2_262
.LBB2_263:
	s_trap 2
	s_sendmsg_rtn_b32 s0, sendmsg(MSG_RTN_GET_DOORBELL)
	s_mov_b32 ttmp2, m0
	s_waitcnt lgkmcnt(0)
	s_and_b32 s0, s0, 0x3ff
	s_delay_alu instid0(SALU_CYCLE_1) | instskip(NEXT) | instid1(SALU_CYCLE_1)
	s_bitset1_b32 s0, 10
	s_mov_b32 m0, s0
	s_sendmsg sendmsg(MSG_INTERRUPT)
	s_mov_b32 m0, ttmp2
.LBB2_264:                              ; =>This Inner Loop Header: Depth=1
	s_sethalt 5
	s_branch .LBB2_264
.LBB2_265:
	s_trap 2
	s_sendmsg_rtn_b32 s0, sendmsg(MSG_RTN_GET_DOORBELL)
	s_mov_b32 ttmp2, m0
	s_waitcnt lgkmcnt(0)
	s_and_b32 s0, s0, 0x3ff
	s_delay_alu instid0(SALU_CYCLE_1) | instskip(NEXT) | instid1(SALU_CYCLE_1)
	s_bitset1_b32 s0, 10
	s_mov_b32 m0, s0
	s_sendmsg sendmsg(MSG_INTERRUPT)
	s_mov_b32 m0, ttmp2
.LBB2_266:                              ; =>This Inner Loop Header: Depth=1
	s_sethalt 5
	s_branch .LBB2_266
.LBB2_267:
	s_trap 2
	s_sendmsg_rtn_b32 s0, sendmsg(MSG_RTN_GET_DOORBELL)
	s_mov_b32 ttmp2, m0
	s_waitcnt lgkmcnt(0)
	s_and_b32 s0, s0, 0x3ff
	s_delay_alu instid0(SALU_CYCLE_1) | instskip(NEXT) | instid1(SALU_CYCLE_1)
	s_bitset1_b32 s0, 10
	s_mov_b32 m0, s0
	s_sendmsg sendmsg(MSG_INTERRUPT)
	s_mov_b32 m0, ttmp2
.LBB2_268:                              ; =>This Inner Loop Header: Depth=1
	s_sethalt 5
	s_branch .LBB2_268
.LBB2_269:
	s_trap 2
	s_sendmsg_rtn_b32 s0, sendmsg(MSG_RTN_GET_DOORBELL)
	s_mov_b32 ttmp2, m0
	s_waitcnt lgkmcnt(0)
	s_and_b32 s0, s0, 0x3ff
	s_delay_alu instid0(SALU_CYCLE_1) | instskip(NEXT) | instid1(SALU_CYCLE_1)
	s_bitset1_b32 s0, 10
	s_mov_b32 m0, s0
	s_sendmsg sendmsg(MSG_INTERRUPT)
	s_mov_b32 m0, ttmp2
.LBB2_270:                              ; =>This Inner Loop Header: Depth=1
	s_sethalt 5
	s_branch .LBB2_270
.LBB2_271:                              ;   in Loop: Header=BB2_272 Depth=1
	s_or_b32 exec_lo, exec_lo, s10
	s_delay_alu instid0(SALU_CYCLE_1) | instskip(NEXT) | instid1(SALU_CYCLE_1)
	s_and_b32 s8, exec_lo, s9
	s_or_b32 s4, s8, s4
	s_and_not1_b32 s5, s5, exec_lo
	s_and_b32 s8, s6, exec_lo
	s_delay_alu instid0(SALU_CYCLE_1)
	s_or_b32 s5, s5, s8
	s_and_not1_b32 exec_lo, exec_lo, s4
	s_cbranch_execz .LBB2_318
.LBB2_272:                              ; =>This Inner Loop Header: Depth=1
	s_add_i32 s7, s7, 1
                                        ; implicit-def: $sgpr9
	s_delay_alu instid0(SALU_CYCLE_1) | instskip(SKIP_1) | instid1(SALU_CYCLE_1)
	s_cmpk_lg_i32 s7, 0x2710
	s_cselect_b32 s8, -1, 0
	s_and_b32 vcc_lo, exec_lo, s8
	s_cbranch_vccz .LBB2_276
.LBB2_273:                              ;   in Loop: Header=BB2_272 Depth=1
	s_and_not1_b32 s6, s6, exec_lo
	s_and_b32 s10, s9, exec_lo
	s_mov_b32 s9, -1
	s_or_b32 s6, s6, s10
	s_and_saveexec_b32 s10, s8
	s_cbranch_execz .LBB2_271
; %bb.274:                              ;   in Loop: Header=BB2_272 Depth=1
	s_sleep 1
	s_cbranch_execnz .LBB2_296
; %bb.275:                              ;   in Loop: Header=BB2_272 Depth=1
	ds_load_b64 v[2:3], v0
	s_and_not1_b32 s6, s6, exec_lo
	s_waitcnt lgkmcnt(0)
	v_cmp_ge_u64_e32 vcc_lo, v[2:3], v[0:1]
	s_or_not1_b32 s9, vcc_lo, exec_lo
	s_branch .LBB2_271
.LBB2_276:                              ;   in Loop: Header=BB2_272 Depth=1
	s_cbranch_execnz .LBB2_302
; %bb.277:                              ;   in Loop: Header=BB2_272 Depth=1
	ds_load_b64 v[2:3], v0
	s_and_not1_b32 s8, s8, exec_lo
	s_mov_b32 s7, 0
	s_mov_b32 s9, -1
	s_waitcnt lgkmcnt(0)
	flat_load_b32 v2, v[2:3] glc
	s_waitcnt vmcnt(0) lgkmcnt(0)
	buffer_gl1_inv
	buffer_gl0_inv
	v_cmp_eq_u32_e32 vcc_lo, 0, v2
	s_and_b32 s10, vcc_lo, exec_lo
	s_delay_alu instid0(SALU_CYCLE_1)
	s_or_b32 s8, s8, s10
	s_branch .LBB2_273
.LBB2_278:
	s_trap 2
	s_sendmsg_rtn_b32 s0, sendmsg(MSG_RTN_GET_DOORBELL)
	s_mov_b32 ttmp2, m0
	s_waitcnt lgkmcnt(0)
	s_and_b32 s0, s0, 0x3ff
	s_delay_alu instid0(SALU_CYCLE_1) | instskip(NEXT) | instid1(SALU_CYCLE_1)
	s_bitset1_b32 s0, 10
	s_mov_b32 m0, s0
	s_sendmsg sendmsg(MSG_INTERRUPT)
	s_mov_b32 m0, ttmp2
.LBB2_279:                              ; =>This Inner Loop Header: Depth=1
	s_sethalt 5
	s_branch .LBB2_279
.LBB2_280:
	s_trap 2
	s_sendmsg_rtn_b32 s0, sendmsg(MSG_RTN_GET_DOORBELL)
	s_mov_b32 ttmp2, m0
	s_waitcnt lgkmcnt(0)
	s_and_b32 s0, s0, 0x3ff
	s_delay_alu instid0(SALU_CYCLE_1) | instskip(NEXT) | instid1(SALU_CYCLE_1)
	s_bitset1_b32 s0, 10
	s_mov_b32 m0, s0
	s_sendmsg sendmsg(MSG_INTERRUPT)
	s_mov_b32 m0, ttmp2
.LBB2_281:                              ; =>This Inner Loop Header: Depth=1
	s_sethalt 5
	s_branch .LBB2_281
.LBB2_282:
	s_trap 2
	s_sendmsg_rtn_b32 s0, sendmsg(MSG_RTN_GET_DOORBELL)
	s_mov_b32 ttmp2, m0
	s_waitcnt lgkmcnt(0)
	s_and_b32 s0, s0, 0x3ff
	s_delay_alu instid0(SALU_CYCLE_1) | instskip(NEXT) | instid1(SALU_CYCLE_1)
	s_bitset1_b32 s0, 10
	s_mov_b32 m0, s0
	s_sendmsg sendmsg(MSG_INTERRUPT)
	s_mov_b32 m0, ttmp2
.LBB2_283:                              ; =>This Inner Loop Header: Depth=1
	s_sethalt 5
	s_branch .LBB2_283
.LBB2_284:
	s_trap 2
	s_sendmsg_rtn_b32 s0, sendmsg(MSG_RTN_GET_DOORBELL)
	s_mov_b32 ttmp2, m0
	s_waitcnt lgkmcnt(0)
	s_and_b32 s0, s0, 0x3ff
	s_delay_alu instid0(SALU_CYCLE_1) | instskip(NEXT) | instid1(SALU_CYCLE_1)
	s_bitset1_b32 s0, 10
	s_mov_b32 m0, s0
	s_sendmsg sendmsg(MSG_INTERRUPT)
	s_mov_b32 m0, ttmp2
.LBB2_285:                              ; =>This Inner Loop Header: Depth=1
	s_sethalt 5
	s_branch .LBB2_285
.LBB2_286:
	s_trap 2
	s_sendmsg_rtn_b32 s0, sendmsg(MSG_RTN_GET_DOORBELL)
	s_mov_b32 ttmp2, m0
	s_waitcnt lgkmcnt(0)
	s_and_b32 s0, s0, 0x3ff
	s_delay_alu instid0(SALU_CYCLE_1) | instskip(NEXT) | instid1(SALU_CYCLE_1)
	s_bitset1_b32 s0, 10
	s_mov_b32 m0, s0
	s_sendmsg sendmsg(MSG_INTERRUPT)
	s_mov_b32 m0, ttmp2
.LBB2_287:                              ; =>This Inner Loop Header: Depth=1
	s_sethalt 5
	s_branch .LBB2_287
.LBB2_288:
	s_trap 2
	s_sendmsg_rtn_b32 s0, sendmsg(MSG_RTN_GET_DOORBELL)
	s_mov_b32 ttmp2, m0
	s_waitcnt lgkmcnt(0)
	s_and_b32 s0, s0, 0x3ff
	s_delay_alu instid0(SALU_CYCLE_1) | instskip(NEXT) | instid1(SALU_CYCLE_1)
	s_bitset1_b32 s0, 10
	s_mov_b32 m0, s0
	s_sendmsg sendmsg(MSG_INTERRUPT)
	s_mov_b32 m0, ttmp2
.LBB2_289:                              ; =>This Inner Loop Header: Depth=1
	s_sethalt 5
	s_branch .LBB2_289
.LBB2_290:
	s_trap 2
	s_sendmsg_rtn_b32 s0, sendmsg(MSG_RTN_GET_DOORBELL)
	s_mov_b32 ttmp2, m0
	s_waitcnt lgkmcnt(0)
	s_and_b32 s0, s0, 0x3ff
	s_delay_alu instid0(SALU_CYCLE_1) | instskip(NEXT) | instid1(SALU_CYCLE_1)
	s_bitset1_b32 s0, 10
	s_mov_b32 m0, s0
	s_sendmsg sendmsg(MSG_INTERRUPT)
	s_mov_b32 m0, ttmp2
.LBB2_291:                              ; =>This Inner Loop Header: Depth=1
	s_sethalt 5
	s_branch .LBB2_291
.LBB2_292:
	s_trap 2
	s_sendmsg_rtn_b32 s0, sendmsg(MSG_RTN_GET_DOORBELL)
	s_mov_b32 ttmp2, m0
	s_waitcnt lgkmcnt(0)
	s_and_b32 s0, s0, 0x3ff
	s_delay_alu instid0(SALU_CYCLE_1) | instskip(NEXT) | instid1(SALU_CYCLE_1)
	s_bitset1_b32 s0, 10
	s_mov_b32 m0, s0
	s_sendmsg sendmsg(MSG_INTERRUPT)
	s_mov_b32 m0, ttmp2
.LBB2_293:                              ; =>This Inner Loop Header: Depth=1
	s_sethalt 5
	s_branch .LBB2_293
.LBB2_294:
	s_trap 2
	s_sendmsg_rtn_b32 s0, sendmsg(MSG_RTN_GET_DOORBELL)
	s_mov_b32 ttmp2, m0
	s_waitcnt lgkmcnt(0)
	s_and_b32 s0, s0, 0x3ff
	s_delay_alu instid0(SALU_CYCLE_1) | instskip(NEXT) | instid1(SALU_CYCLE_1)
	s_bitset1_b32 s0, 10
	s_mov_b32 m0, s0
	s_sendmsg sendmsg(MSG_INTERRUPT)
	s_mov_b32 m0, ttmp2
.LBB2_295:                              ; =>This Inner Loop Header: Depth=1
	s_sethalt 5
	s_branch .LBB2_295
.LBB2_296:
	s_trap 2
	s_sendmsg_rtn_b32 s0, sendmsg(MSG_RTN_GET_DOORBELL)
	s_mov_b32 ttmp2, m0
	s_waitcnt lgkmcnt(0)
	s_and_b32 s0, s0, 0x3ff
	s_delay_alu instid0(SALU_CYCLE_1) | instskip(NEXT) | instid1(SALU_CYCLE_1)
	s_bitset1_b32 s0, 10
	s_mov_b32 m0, s0
	s_sendmsg sendmsg(MSG_INTERRUPT)
	s_mov_b32 m0, ttmp2
.LBB2_297:                              ; =>This Inner Loop Header: Depth=1
	s_sethalt 5
	s_branch .LBB2_297
.LBB2_298:
	s_trap 2
	s_sendmsg_rtn_b32 s0, sendmsg(MSG_RTN_GET_DOORBELL)
	s_mov_b32 ttmp2, m0
	s_waitcnt lgkmcnt(0)
	s_and_b32 s0, s0, 0x3ff
	s_delay_alu instid0(SALU_CYCLE_1) | instskip(NEXT) | instid1(SALU_CYCLE_1)
	s_bitset1_b32 s0, 10
	s_mov_b32 m0, s0
	s_sendmsg sendmsg(MSG_INTERRUPT)
	s_mov_b32 m0, ttmp2
.LBB2_299:                              ; =>This Inner Loop Header: Depth=1
	s_sethalt 5
	s_branch .LBB2_299
.LBB2_300:
	s_trap 2
	s_sendmsg_rtn_b32 s0, sendmsg(MSG_RTN_GET_DOORBELL)
	s_mov_b32 ttmp2, m0
	s_waitcnt lgkmcnt(0)
	s_and_b32 s0, s0, 0x3ff
	s_delay_alu instid0(SALU_CYCLE_1) | instskip(NEXT) | instid1(SALU_CYCLE_1)
	s_bitset1_b32 s0, 10
	s_mov_b32 m0, s0
	s_sendmsg sendmsg(MSG_INTERRUPT)
	s_mov_b32 m0, ttmp2
.LBB2_301:                              ; =>This Inner Loop Header: Depth=1
	s_sethalt 5
	s_branch .LBB2_301
.LBB2_302:
	s_trap 2
	s_sendmsg_rtn_b32 s0, sendmsg(MSG_RTN_GET_DOORBELL)
	s_mov_b32 ttmp2, m0
	s_waitcnt lgkmcnt(0)
	s_and_b32 s0, s0, 0x3ff
	s_delay_alu instid0(SALU_CYCLE_1) | instskip(NEXT) | instid1(SALU_CYCLE_1)
	s_bitset1_b32 s0, 10
	s_mov_b32 m0, s0
	s_sendmsg sendmsg(MSG_INTERRUPT)
	s_mov_b32 m0, ttmp2
.LBB2_303:                              ; =>This Inner Loop Header: Depth=1
	s_sethalt 5
	s_branch .LBB2_303
.LBB2_304:
	s_trap 2
	s_sendmsg_rtn_b32 s0, sendmsg(MSG_RTN_GET_DOORBELL)
	s_mov_b32 ttmp2, m0
	s_waitcnt lgkmcnt(0)
	s_and_b32 s0, s0, 0x3ff
	s_delay_alu instid0(SALU_CYCLE_1) | instskip(NEXT) | instid1(SALU_CYCLE_1)
	s_bitset1_b32 s0, 10
	s_mov_b32 m0, s0
	s_sendmsg sendmsg(MSG_INTERRUPT)
	s_mov_b32 m0, ttmp2
.LBB2_305:                              ; =>This Inner Loop Header: Depth=1
	s_sethalt 5
	s_branch .LBB2_305
.LBB2_306:
	s_trap 2
	s_sendmsg_rtn_b32 s0, sendmsg(MSG_RTN_GET_DOORBELL)
	s_mov_b32 ttmp2, m0
	s_waitcnt lgkmcnt(0)
	s_and_b32 s0, s0, 0x3ff
	s_delay_alu instid0(SALU_CYCLE_1) | instskip(NEXT) | instid1(SALU_CYCLE_1)
	s_bitset1_b32 s0, 10
	s_mov_b32 m0, s0
	s_sendmsg sendmsg(MSG_INTERRUPT)
	s_mov_b32 m0, ttmp2
.LBB2_307:                              ; =>This Inner Loop Header: Depth=1
	s_sethalt 5
	s_branch .LBB2_307
.LBB2_308:
	s_trap 2
	s_sendmsg_rtn_b32 s0, sendmsg(MSG_RTN_GET_DOORBELL)
	s_mov_b32 ttmp2, m0
	s_waitcnt lgkmcnt(0)
	s_and_b32 s0, s0, 0x3ff
	s_delay_alu instid0(SALU_CYCLE_1) | instskip(NEXT) | instid1(SALU_CYCLE_1)
	s_bitset1_b32 s0, 10
	s_mov_b32 m0, s0
	s_sendmsg sendmsg(MSG_INTERRUPT)
	s_mov_b32 m0, ttmp2
.LBB2_309:                              ; =>This Inner Loop Header: Depth=1
	s_sethalt 5
	s_branch .LBB2_309
.LBB2_310:
	s_trap 2
	s_sendmsg_rtn_b32 s0, sendmsg(MSG_RTN_GET_DOORBELL)
	s_mov_b32 ttmp2, m0
	s_waitcnt lgkmcnt(0)
	s_and_b32 s0, s0, 0x3ff
	s_delay_alu instid0(SALU_CYCLE_1) | instskip(NEXT) | instid1(SALU_CYCLE_1)
	s_bitset1_b32 s0, 10
	s_mov_b32 m0, s0
	s_sendmsg sendmsg(MSG_INTERRUPT)
	s_mov_b32 m0, ttmp2
.LBB2_311:                              ; =>This Inner Loop Header: Depth=1
	s_sethalt 5
	s_branch .LBB2_311
.LBB2_312:
	s_trap 2
	s_sendmsg_rtn_b32 s0, sendmsg(MSG_RTN_GET_DOORBELL)
	s_mov_b32 ttmp2, m0
	s_waitcnt lgkmcnt(0)
	s_and_b32 s0, s0, 0x3ff
	s_delay_alu instid0(SALU_CYCLE_1) | instskip(NEXT) | instid1(SALU_CYCLE_1)
	s_bitset1_b32 s0, 10
	s_mov_b32 m0, s0
	s_sendmsg sendmsg(MSG_INTERRUPT)
	s_mov_b32 m0, ttmp2
.LBB2_313:                              ; =>This Inner Loop Header: Depth=1
	s_sethalt 5
	s_branch .LBB2_313
.LBB2_314:
	s_trap 2
	s_sendmsg_rtn_b32 s0, sendmsg(MSG_RTN_GET_DOORBELL)
	s_mov_b32 ttmp2, m0
	s_waitcnt lgkmcnt(0)
	s_and_b32 s0, s0, 0x3ff
	s_delay_alu instid0(SALU_CYCLE_1) | instskip(NEXT) | instid1(SALU_CYCLE_1)
	s_bitset1_b32 s0, 10
	s_mov_b32 m0, s0
	s_sendmsg sendmsg(MSG_INTERRUPT)
	s_mov_b32 m0, ttmp2
.LBB2_315:                              ; =>This Inner Loop Header: Depth=1
	s_sethalt 5
	s_branch .LBB2_315
.LBB2_316:
	s_trap 2
	s_sendmsg_rtn_b32 s0, sendmsg(MSG_RTN_GET_DOORBELL)
	s_mov_b32 ttmp2, m0
	s_waitcnt lgkmcnt(0)
	s_and_b32 s0, s0, 0x3ff
	s_delay_alu instid0(SALU_CYCLE_1) | instskip(NEXT) | instid1(SALU_CYCLE_1)
	s_bitset1_b32 s0, 10
	s_mov_b32 m0, s0
	s_sendmsg sendmsg(MSG_INTERRUPT)
	s_mov_b32 m0, ttmp2
.LBB2_317:                              ; =>This Inner Loop Header: Depth=1
	s_sethalt 5
	s_branch .LBB2_317
.LBB2_318:
	s_or_b32 exec_lo, exec_lo, s4
	s_and_saveexec_b32 s4, s5
	s_delay_alu instid0(SALU_CYCLE_1)
	s_xor_b32 s4, exec_lo, s4
	s_cbranch_execz .LBB2_320
; %bb.319:
	v_mov_b32_e32 v0, 1
	ds_store_b32 v0, v0
	s_cbranch_execnz .LBB2_327
.LBB2_320:
	s_or_b32 exec_lo, exec_lo, s3
	;;#ASMSTART
	s_wakeup
	;;#ASMEND
.LBB2_321:
	s_or_b32 exec_lo, exec_lo, s2
.LBB2_322:
	s_and_not1_saveexec_b32 s1, s1
	s_cbranch_execz .LBB2_324
; %bb.323:
	s_waitcnt vmcnt(0) lgkmcnt(0)
	s_waitcnt_vscnt null, 0x0
	buffer_gl1_inv
	buffer_gl0_inv
	s_barrier
.LBB2_324:
	s_or_b32 exec_lo, exec_lo, s0
	s_waitcnt vmcnt(0) lgkmcnt(0)
	s_setpc_b64 s[30:31]
.LBB2_325:
	s_trap 2
	s_sendmsg_rtn_b32 s0, sendmsg(MSG_RTN_GET_DOORBELL)
	s_mov_b32 ttmp2, m0
	s_waitcnt lgkmcnt(0)
	s_and_b32 s0, s0, 0x3ff
	s_delay_alu instid0(SALU_CYCLE_1) | instskip(NEXT) | instid1(SALU_CYCLE_1)
	s_bitset1_b32 s0, 10
	s_mov_b32 m0, s0
	s_sendmsg sendmsg(MSG_INTERRUPT)
	s_mov_b32 m0, ttmp2
.LBB2_326:                              ; =>This Inner Loop Header: Depth=1
	s_sethalt 5
	s_branch .LBB2_326
.LBB2_327:
	s_trap 2
	s_sendmsg_rtn_b32 s0, sendmsg(MSG_RTN_GET_DOORBELL)
	s_mov_b32 ttmp2, m0
	s_waitcnt lgkmcnt(0)
	s_and_b32 s0, s0, 0x3ff
	s_delay_alu instid0(SALU_CYCLE_1) | instskip(NEXT) | instid1(SALU_CYCLE_1)
	s_bitset1_b32 s0, 10
	s_mov_b32 m0, s0
	s_sendmsg sendmsg(MSG_INTERRUPT)
	s_mov_b32 m0, ttmp2
.LBB2_328:                              ; =>This Inner Loop Header: Depth=1
	s_sethalt 5
	s_branch .LBB2_328
.LBB2_329:
	s_trap 2
	s_sendmsg_rtn_b32 s0, sendmsg(MSG_RTN_GET_DOORBELL)
	s_mov_b32 ttmp2, m0
	s_waitcnt lgkmcnt(0)
	s_and_b32 s0, s0, 0x3ff
	s_delay_alu instid0(SALU_CYCLE_1) | instskip(NEXT) | instid1(SALU_CYCLE_1)
	s_bitset1_b32 s0, 10
	s_mov_b32 m0, s0
	s_sendmsg sendmsg(MSG_INTERRUPT)
	s_mov_b32 m0, ttmp2
.LBB2_330:                              ; =>This Inner Loop Header: Depth=1
	s_sethalt 5
	s_branch .LBB2_330
.LBB2_331:
	s_trap 2
	s_sendmsg_rtn_b32 s0, sendmsg(MSG_RTN_GET_DOORBELL)
	s_mov_b32 ttmp2, m0
	s_waitcnt lgkmcnt(0)
	s_and_b32 s0, s0, 0x3ff
	s_delay_alu instid0(SALU_CYCLE_1) | instskip(NEXT) | instid1(SALU_CYCLE_1)
	s_bitset1_b32 s0, 10
	s_mov_b32 m0, s0
	s_sendmsg sendmsg(MSG_INTERRUPT)
	s_mov_b32 m0, ttmp2
.LBB2_332:                              ; =>This Inner Loop Header: Depth=1
	s_sethalt 5
	s_branch .LBB2_332
.LBB2_333:
	s_trap 2
	s_sendmsg_rtn_b32 s0, sendmsg(MSG_RTN_GET_DOORBELL)
	s_mov_b32 ttmp2, m0
	s_waitcnt lgkmcnt(0)
	s_and_b32 s0, s0, 0x3ff
	s_delay_alu instid0(SALU_CYCLE_1) | instskip(NEXT) | instid1(SALU_CYCLE_1)
	s_bitset1_b32 s0, 10
	s_mov_b32 m0, s0
	s_sendmsg sendmsg(MSG_INTERRUPT)
	s_mov_b32 m0, ttmp2
.LBB2_334:                              ; =>This Inner Loop Header: Depth=1
	s_sethalt 5
	s_branch .LBB2_334
.Lfunc_end2:
	.size	_ZN12_GLOBAL__N_17runRingIh14FuncSumPostDivIhE7ProtoLLLi0ELi2ELi0EEEviiP15ncclDevWorkColl, .Lfunc_end2-_ZN12_GLOBAL__N_17runRingIh14FuncSumPostDivIhE7ProtoLLLi0ELi2ELi0EEEviiP15ncclDevWorkColl
                                        ; -- End function
	.section	.AMDGPU.csdata,"",@progbits
; Function info:
; codeLenInByte = 10928
; NumSgprs: 34
; NumVgprs: 165
; ScratchSize: 0
; MemoryBound: 0
	.text
	.p2align	2                               ; -- Begin function _Z53ncclDevFunc_ReduceScatter_RING_LL_SumPostDiv_u8_0_0_2v
	.type	_Z53ncclDevFunc_ReduceScatter_RING_LL_SumPostDiv_u8_0_0_2v,@function
_Z53ncclDevFunc_ReduceScatter_RING_LL_SumPostDiv_u8_0_0_2v: ; @_Z53ncclDevFunc_ReduceScatter_RING_LL_SumPostDiv_u8_0_0_2v
; %bb.0:
	s_waitcnt vmcnt(0) expcnt(0) lgkmcnt(0)
	s_mov_b32 s0, s33
	s_mov_b32 s33, s32
	s_or_saveexec_b32 s1, -1
	scratch_store_b32 off, v40, s33         ; 4-byte Folded Spill
	s_mov_b32 exec_lo, s1
	v_writelane_b32 v40, s0, 6
	s_add_i32 s32, s32, 16
	v_writelane_b32 v40, s34, 0
	v_writelane_b32 v40, s35, 1
	;; [unrolled: 1-line block ×6, first 2 shown]
	s_cbranch_execnz .LBB3_7
; %bb.1:
	ds_load_b32 v0, v0
	v_and_b32_e32 v165, 0x3ff, v31
	s_mov_b32 s0, exec_lo
	s_waitcnt lgkmcnt(0)
	s_delay_alu instid0(VALU_DEP_1)
	v_cmpx_lt_i32_e64 v165, v0
	s_cbranch_execz .LBB3_9
; %bb.2:
	s_load_b32 s1, s[8:9], 0x0
	v_mov_b32_e32 v1, 0
	s_waitcnt lgkmcnt(0)
	s_cmp_lt_u32 s12, s1
	s_cselect_b32 s1, 12, 18
	s_delay_alu instid0(SALU_CYCLE_1)
	s_add_u32 s2, s8, s1
	s_addc_u32 s3, s9, 0
	s_mov_b32 s1, 0
	global_load_u16 v1, v1, s[2:3]
	s_cbranch_execnz .LBB3_24
; %bb.3:
	ds_load_b32 v2, v0
	v_mov_b32_e32 v3, v165
                                        ; implicit-def: $vgpr4
	s_waitcnt vmcnt(0) lgkmcnt(0)
	v_mul_lo_u32 v2, v2, v1
	s_branch .LBB3_5
	.p2align	6
.LBB3_4:                                ;   in Loop: Header=BB3_5 Depth=1
	s_or_b32 exec_lo, exec_lo, s2
	v_add_nc_u32_e32 v3, v3, v1
	v_add_nc_u32_e32 v4, v4, v2
	s_delay_alu instid0(VALU_DEP_2) | instskip(SKIP_1) | instid1(SALU_CYCLE_1)
	v_cmp_ge_i32_e32 vcc_lo, v3, v0
	s_or_b32 s1, vcc_lo, s1
	s_and_not1_b32 exec_lo, exec_lo, s1
	s_cbranch_execz .LBB3_9
.LBB3_5:                                ; =>This Inner Loop Header: Depth=1
	ds_load_b32 v5, v4
	s_mov_b32 s2, exec_lo
	s_waitcnt lgkmcnt(0)
	v_and_b32_e32 v5, 0x1000000, v5
	s_delay_alu instid0(VALU_DEP_1)
	v_cmpx_ne_u32_e32 0, v5
	s_cbranch_execz .LBB3_4
; %bb.6:                                ;   in Loop: Header=BB3_5 Depth=1
	ds_load_b64 v[5:6], v4 offset:104
	s_waitcnt lgkmcnt(0)
	flat_load_b64 v[5:6], v[5:6]
	s_waitcnt vmcnt(0) lgkmcnt(0)
	ds_store_b64 v4, v[5:6] offset:104
	s_branch .LBB3_4
.LBB3_7:
	s_trap 2
	s_sendmsg_rtn_b32 s0, sendmsg(MSG_RTN_GET_DOORBELL)
	s_mov_b32 ttmp2, m0
	s_waitcnt lgkmcnt(0)
	s_and_b32 s0, s0, 0x3ff
	s_delay_alu instid0(SALU_CYCLE_1) | instskip(NEXT) | instid1(SALU_CYCLE_1)
	s_bitset1_b32 s0, 10
	s_mov_b32 m0, s0
	s_sendmsg sendmsg(MSG_INTERRUPT)
	s_mov_b32 m0, ttmp2
.LBB3_8:                                ; =>This Inner Loop Header: Depth=1
	s_sethalt 5
	s_branch .LBB3_8
.LBB3_9:
	s_or_b32 exec_lo, exec_lo, s0
	s_waitcnt lgkmcnt(0)
	s_waitcnt_vscnt null, 0x0
	s_barrier
	buffer_gl0_inv
	s_cbranch_execnz .LBB3_22
; %bb.10:
	ds_load_b32 v0, v0
	s_waitcnt lgkmcnt(0)
	v_cmp_gt_i32_e32 vcc_lo, 1, v0
	s_cbranch_vccnz .LBB3_21
; %bb.11:
	s_mov_b32 s36, 0
	s_mov_b64 s[34:35], src_shared_base
.LBB3_12:                               ; =>This Inner Loop Header: Depth=1
	s_cbranch_execnz .LBB3_26
; %bb.13:                               ;   in Loop: Header=BB3_12 Depth=1
	ds_load_b32 v0, v0
	s_cmp_eq_u32 s36, 0
	s_cbranch_scc1 .LBB3_17
; %bb.14:                               ;   in Loop: Header=BB3_12 Depth=1
	s_cbranch_execnz .LBB3_30
; %bb.15:                               ;   in Loop: Header=BB3_12 Depth=1
	s_waitcnt lgkmcnt(0)
	ds_load_b32 v1, v0
	s_waitcnt lgkmcnt(0)
	v_xor_b32_e32 v1, v1, v0
	s_delay_alu instid0(VALU_DEP_1) | instskip(NEXT) | instid1(VALU_DEP_1)
	v_and_b32_e32 v1, 0xff0000, v1
	v_cmp_eq_u32_e32 vcc_lo, 0, v1
	s_cbranch_vccnz .LBB3_17
; %bb.16:                               ;   in Loop: Header=BB3_12 Depth=1
	s_waitcnt_vscnt null, 0x0
	s_barrier
	buffer_gl0_inv
	ds_load_b32 v0, v0
.LBB3_17:                               ;   in Loop: Header=BB3_12 Depth=1
	s_waitcnt lgkmcnt(0)
	v_lshrrev_b32_e32 v0, 11, v0
	s_mov_b32 s37, exec_lo
	s_delay_alu instid0(VALU_DEP_1) | instskip(NEXT) | instid1(VALU_DEP_1)
	v_and_b32_e32 v1, 0x1fe0, v0
	v_cmpx_lt_u32_e64 v165, v1
	s_cbranch_execz .LBB3_19
; %bb.18:                               ;   in Loop: Header=BB3_12 Depth=1
	v_dual_mov_b32 v0, v165 :: v_dual_mov_b32 v3, s35
	s_getpc_b64 s[0:1]
	s_add_u32 s0, s0, _ZN12_GLOBAL__N_17runRingIh14FuncSumPostDivIhE7ProtoLLLi0ELi2ELi0EEEviiP15ncclDevWorkColl@rel32@lo+4
	s_addc_u32 s1, s1, _ZN12_GLOBAL__N_17runRingIh14FuncSumPostDivIhE7ProtoLLLi0ELi2ELi0EEEviiP15ncclDevWorkColl@rel32@hi+12
	s_mov_b64 s[28:29], s[8:9]
	s_mov_b32 s34, s12
	s_swappc_b64 s[30:31], s[0:1]
	s_mov_b32 s12, s34
	s_mov_b64 s[8:9], s[28:29]
.LBB3_19:                               ;   in Loop: Header=BB3_12 Depth=1
	s_or_b32 exec_lo, exec_lo, s37
	s_cbranch_execnz .LBB3_28
; %bb.20:                               ;   in Loop: Header=BB3_12 Depth=1
	ds_load_b32 v0, v0
	s_add_i32 s36, s36, 1
	s_waitcnt lgkmcnt(0)
	v_cmp_lt_i32_e32 vcc_lo, s36, v0
	s_cbranch_vccnz .LBB3_12
.LBB3_21:
	v_readlane_b32 s30, v40, 4
	v_readlane_b32 s31, v40, 5
	;; [unrolled: 1-line block ×7, first 2 shown]
	s_or_saveexec_b32 s1, -1
	scratch_load_b32 v40, off, s33          ; 4-byte Folded Reload
	s_mov_b32 exec_lo, s1
	s_add_i32 s32, s32, -16
	s_mov_b32 s33, s0
	s_waitcnt vmcnt(0)
	s_setpc_b64 s[30:31]
.LBB3_22:
	s_trap 2
	s_sendmsg_rtn_b32 s0, sendmsg(MSG_RTN_GET_DOORBELL)
	s_mov_b32 ttmp2, m0
	s_waitcnt lgkmcnt(0)
	s_and_b32 s0, s0, 0x3ff
	s_delay_alu instid0(SALU_CYCLE_1) | instskip(NEXT) | instid1(SALU_CYCLE_1)
	s_bitset1_b32 s0, 10
	s_mov_b32 m0, s0
	s_sendmsg sendmsg(MSG_INTERRUPT)
	s_mov_b32 m0, ttmp2
.LBB3_23:                               ; =>This Inner Loop Header: Depth=1
	s_sethalt 5
	s_branch .LBB3_23
.LBB3_24:
	s_trap 2
	s_sendmsg_rtn_b32 s0, sendmsg(MSG_RTN_GET_DOORBELL)
	s_mov_b32 ttmp2, m0
	s_waitcnt lgkmcnt(0)
	s_and_b32 s0, s0, 0x3ff
	s_delay_alu instid0(SALU_CYCLE_1) | instskip(NEXT) | instid1(SALU_CYCLE_1)
	s_bitset1_b32 s0, 10
	s_mov_b32 m0, s0
	s_sendmsg sendmsg(MSG_INTERRUPT)
	s_mov_b32 m0, ttmp2
.LBB3_25:                               ; =>This Inner Loop Header: Depth=1
	s_sethalt 5
	s_branch .LBB3_25
.LBB3_26:
	s_trap 2
	s_sendmsg_rtn_b32 s0, sendmsg(MSG_RTN_GET_DOORBELL)
	s_mov_b32 ttmp2, m0
	s_waitcnt lgkmcnt(0)
	s_and_b32 s0, s0, 0x3ff
	s_delay_alu instid0(SALU_CYCLE_1) | instskip(NEXT) | instid1(SALU_CYCLE_1)
	s_bitset1_b32 s0, 10
	s_mov_b32 m0, s0
	s_sendmsg sendmsg(MSG_INTERRUPT)
	s_mov_b32 m0, ttmp2
.LBB3_27:                               ; =>This Inner Loop Header: Depth=1
	s_sethalt 5
	s_branch .LBB3_27
.LBB3_28:
	s_trap 2
	s_sendmsg_rtn_b32 s0, sendmsg(MSG_RTN_GET_DOORBELL)
	s_mov_b32 ttmp2, m0
	s_waitcnt lgkmcnt(0)
	s_and_b32 s0, s0, 0x3ff
	s_delay_alu instid0(SALU_CYCLE_1) | instskip(NEXT) | instid1(SALU_CYCLE_1)
	s_bitset1_b32 s0, 10
	s_mov_b32 m0, s0
	s_sendmsg sendmsg(MSG_INTERRUPT)
	s_mov_b32 m0, ttmp2
.LBB3_29:                               ; =>This Inner Loop Header: Depth=1
	s_sethalt 5
	s_branch .LBB3_29
.LBB3_30:
	s_trap 2
	s_sendmsg_rtn_b32 s0, sendmsg(MSG_RTN_GET_DOORBELL)
	s_mov_b32 ttmp2, m0
	s_waitcnt lgkmcnt(0)
	s_and_b32 s0, s0, 0x3ff
	s_delay_alu instid0(SALU_CYCLE_1) | instskip(NEXT) | instid1(SALU_CYCLE_1)
	s_bitset1_b32 s0, 10
	s_mov_b32 m0, s0
	s_sendmsg sendmsg(MSG_INTERRUPT)
	s_mov_b32 m0, ttmp2
.LBB3_31:                               ; =>This Inner Loop Header: Depth=1
	s_sethalt 5
	s_branch .LBB3_31
.Lfunc_end3:
	.size	_Z53ncclDevFunc_ReduceScatter_RING_LL_SumPostDiv_u8_0_0_2v, .Lfunc_end3-_Z53ncclDevFunc_ReduceScatter_RING_LL_SumPostDiv_u8_0_0_2v
                                        ; -- End function
	.section	.AMDGPU.csdata,"",@progbits
; Function info:
; codeLenInByte = 976
; NumSgprs: 40
; NumVgprs: 166
; ScratchSize: 16
; MemoryBound: 0
	.text
	.p2align	2                               ; -- Begin function _ZN12_GLOBAL__N_17runRingIh14FuncSumPostDivIhE7ProtoLLLi0ELi4ELi0EEEviiP15ncclDevWorkColl
	.type	_ZN12_GLOBAL__N_17runRingIh14FuncSumPostDivIhE7ProtoLLLi0ELi4ELi0EEEviiP15ncclDevWorkColl,@function
_ZN12_GLOBAL__N_17runRingIh14FuncSumPostDivIhE7ProtoLLLi0ELi4ELi0EEEviiP15ncclDevWorkColl: ; @_ZN12_GLOBAL__N_17runRingIh14FuncSumPostDivIhE7ProtoLLLi0ELi4ELi0EEEviiP15ncclDevWorkColl
; %bb.0:
	s_waitcnt vmcnt(0) expcnt(0) lgkmcnt(0)
	s_cbranch_execnz .LBB4_15
; %bb.1:
	v_mov_b32_e32 v4, v0
	s_clause 0x2
	flat_load_b32 v0, v[2:3]
	flat_load_b128 v[5:8], v[2:3] offset:72
	flat_load_b64 v[19:20], v[2:3] offset:88
	s_mov_b32 s0, exec_lo
                                        ; implicit-def: $vgpr54_vgpr55
                                        ; implicit-def: $vgpr25_vgpr26
	s_waitcnt vmcnt(2) lgkmcnt(2)
	v_and_b32_e32 v11, 0xff, v0
	v_bfe_u32 v10, v0, 8, 8
	s_delay_alu instid0(VALU_DEP_2) | instskip(SKIP_3) | instid1(VALU_DEP_1)
	v_not_b32_e32 v0, v11
	ds_load_b32 v9, v0
	ds_load_b64 v[23:24], v0
	v_add_nc_u32_e32 v12, v10, v0
	v_ashrrev_i32_e32 v13, 31, v12
	s_waitcnt vmcnt(1) lgkmcnt(3)
	v_mul_lo_u32 v14, v8, v12
	v_mad_u64_u32 v[17:18], null, v7, v12, 0
	s_delay_alu instid0(VALU_DEP_3) | instskip(NEXT) | instid1(VALU_DEP_1)
	v_mul_lo_u32 v12, v7, v13
	v_add3_u32 v18, v18, v12, v14
	s_waitcnt lgkmcnt(1)
	v_readfirstlane_b32 s16, v9
	v_cmpx_ne_u32_e64 v11, v9
	s_xor_b32 s0, exec_lo, s0
	s_cbranch_execz .LBB4_7
; %bb.2:
	s_mov_b32 s1, exec_lo
                                        ; implicit-def: $vgpr54_vgpr55
                                        ; implicit-def: $vgpr25_vgpr26
	v_cmpx_ne_u32_e64 v10, v9
	s_xor_b32 s1, exec_lo, s1
	s_cbranch_execz .LBB4_4
; %bb.3:
	flat_load_b64 v[10:11], v[2:3] offset:96
	v_add_nc_u32_e32 v0, v9, v0
	s_delay_alu instid0(VALU_DEP_1) | instskip(SKIP_2) | instid1(VALU_DEP_3)
	v_ashrrev_i32_e32 v9, 31, v0
	v_mul_lo_u32 v12, v8, v0
	v_mad_u64_u32 v[25:26], null, v7, v0, v[5:6]
	v_mul_lo_u32 v9, v7, v9
	s_delay_alu instid0(VALU_DEP_1)
	v_add3_u32 v26, v12, v26, v9
	s_waitcnt vmcnt(0) lgkmcnt(0)
	v_lshrrev_b64 v[54:55], 17, v[10:11]
.LBB4_4:
	s_and_not1_saveexec_b32 s1, s1
	s_cbranch_execz .LBB4_6
; %bb.5:
	flat_load_b32 v0, v[2:3] offset:100
	v_add_co_u32 v25, vcc_lo, v17, v5
	v_add_co_ci_u32_e32 v26, vcc_lo, v18, v6, vcc_lo
	s_waitcnt vmcnt(1)
	v_dual_mov_b32 v7, v19 :: v_dual_mov_b32 v8, v20
	s_waitcnt vmcnt(0) lgkmcnt(0)
	v_lshrrev_b32_e32 v54, 6, v0
.LBB4_6:
	s_or_b32 exec_lo, exec_lo, s1
.LBB4_7:
	s_and_not1_saveexec_b32 s0, s0
	s_cbranch_execz .LBB4_9
; %bb.8:
	flat_load_b64 v[7:8], v[2:3] offset:96
	v_mov_b32_e32 v25, 0
	v_mov_b32_e32 v26, 0
	s_waitcnt vmcnt(0) lgkmcnt(0)
	v_lshlrev_b64 v[54:55], 4, v[7:8]
	v_dual_mov_b32 v8, v6 :: v_dual_mov_b32 v7, v5
.LBB4_9:
	s_or_b32 exec_lo, exec_lo, s0
	s_load_b32 s0, s[8:9], 0x0
	v_mov_b32_e32 v0, 0
	flat_load_b32 v55, v[2:3] offset:104
	s_waitcnt lgkmcnt(0)
	s_cmp_lt_u32 s12, s0
	s_cselect_b32 s0, 12, 18
	s_delay_alu instid0(SALU_CYCLE_1)
	s_add_u32 s0, s8, s0
	s_addc_u32 s1, s9, 0
	s_clause 0x2
	flat_load_b128 v[9:12], v[2:3] offset:16
	flat_load_u16 v14, v[2:3] offset:8
	flat_load_b32 v13, v[2:3] offset:4
	global_load_u16 v0, v0, s[0:1]
	s_mov_b32 s1, 0
	s_cbranch_execnz .LBB4_17
; %bb.10:
	s_waitcnt vmcnt(0)
	ds_load_b32 v2, v0
	s_waitcnt lgkmcnt(1)
	v_lshrrev_b64 v[13:14], 31, v[13:14]
	s_delay_alu instid0(VALU_DEP_1)
	v_and_b32_e32 v14, 3, v13
	v_and_b32_e32 v13, 31, v4
	s_waitcnt lgkmcnt(0)
	v_cmp_gt_i32_e32 vcc_lo, 0, v2
	v_readfirstlane_b32 s6, v2
	s_cbranch_vccnz .LBB4_19
; %bb.11:
	v_cmp_eq_u32_e32 vcc_lo, 0, v13
	s_cbranch_execnz .LBB4_23
; %bb.12:
	ds_load_b64 v[15:16], v0
	v_mov_b32_e32 v3, 0
	v_and_b32_e32 v21, 0xffff, v14
	s_mov_b32 s1, 1
	s_delay_alu instid0(VALU_DEP_2) | instskip(SKIP_1) | instid1(VALU_DEP_1)
	v_lshlrev_b64 v[2:3], 3, v[2:3]
	s_waitcnt lgkmcnt(0)
	v_add_co_u32 v2, s0, v15, v2
	s_delay_alu instid0(VALU_DEP_1)
	v_add_co_ci_u32_e64 v3, s0, v16, v3, s0
	flat_load_b64 v[2:3], v[2:3]
	s_waitcnt vmcnt(0) lgkmcnt(0)
	v_mad_u64_u32 v[15:16], null, 0xa8, v21, v[2:3]
	s_clause 0x1
	flat_load_b64 v[29:30], v[15:16] offset:504
	flat_load_b64 v[32:33], v[15:16] offset:608
	v_add_co_u32 v2, s0, 0x1f8, v15
	s_delay_alu instid0(VALU_DEP_1) | instskip(NEXT) | instid1(VALU_DEP_1)
	v_add_co_ci_u32_e64 v3, s0, 0, v16, s0
	v_dual_cndmask_b32 v27, 0, v2 :: v_dual_cndmask_b32 v28, 0, v3
	s_cbranch_execz .LBB4_20
.LBB4_13:
	s_trap 2
	s_sendmsg_rtn_b32 s0, sendmsg(MSG_RTN_GET_DOORBELL)
	s_mov_b32 ttmp2, m0
	s_waitcnt lgkmcnt(0)
	s_and_b32 s0, s0, 0x3ff
	s_delay_alu instid0(SALU_CYCLE_1) | instskip(NEXT) | instid1(SALU_CYCLE_1)
	s_bitset1_b32 s0, 10
	s_mov_b32 m0, s0
	s_sendmsg sendmsg(MSG_INTERRUPT)
	s_mov_b32 m0, ttmp2
.LBB4_14:                               ; =>This Inner Loop Header: Depth=1
	s_sethalt 5
	s_branch .LBB4_14
.LBB4_15:
	s_trap 2
	s_sendmsg_rtn_b32 s0, sendmsg(MSG_RTN_GET_DOORBELL)
	s_mov_b32 ttmp2, m0
	s_waitcnt lgkmcnt(0)
	s_and_b32 s0, s0, 0x3ff
	s_delay_alu instid0(SALU_CYCLE_1) | instskip(NEXT) | instid1(SALU_CYCLE_1)
	s_bitset1_b32 s0, 10
	s_mov_b32 m0, s0
	s_sendmsg sendmsg(MSG_INTERRUPT)
	s_mov_b32 m0, ttmp2
.LBB4_16:                               ; =>This Inner Loop Header: Depth=1
	s_sethalt 5
	s_branch .LBB4_16
.LBB4_17:
	s_trap 2
	s_sendmsg_rtn_b32 s0, sendmsg(MSG_RTN_GET_DOORBELL)
	s_mov_b32 ttmp2, m0
	s_waitcnt lgkmcnt(0)
	s_and_b32 s0, s0, 0x3ff
	s_delay_alu instid0(SALU_CYCLE_1) | instskip(NEXT) | instid1(SALU_CYCLE_1)
	s_bitset1_b32 s0, 10
	s_mov_b32 m0, s0
	s_sendmsg sendmsg(MSG_INTERRUPT)
	s_mov_b32 m0, ttmp2
.LBB4_18:                               ; =>This Inner Loop Header: Depth=1
	s_sethalt 5
	s_branch .LBB4_18
.LBB4_19:
	v_mov_b32_e32 v27, 0
	v_mov_b32_e32 v28, 0
                                        ; implicit-def: $vgpr32_vgpr33
                                        ; implicit-def: $vgpr29_vgpr30
	s_cbranch_execnz .LBB4_13
.LBB4_20:
	ds_load_b32 v2, v0
	v_mov_b32_e32 v36, 0
	v_mov_b32_e32 v37, 0
	s_waitcnt lgkmcnt(0)
	v_cmp_gt_i32_e32 vcc_lo, 0, v2
	s_cbranch_vccnz .LBB4_25
; %bb.21:
	s_cbranch_execnz .LBB4_253
; %bb.22:
	ds_load_b64 v[15:16], v0
	v_mov_b32_e32 v3, 0
	s_delay_alu instid0(VALU_DEP_1) | instskip(SKIP_1) | instid1(VALU_DEP_1)
	v_lshlrev_b64 v[2:3], 3, v[2:3]
	s_waitcnt lgkmcnt(0)
	v_add_co_u32 v2, vcc_lo, v15, v2
	s_delay_alu instid0(VALU_DEP_2)
	v_add_co_ci_u32_e32 v3, vcc_lo, v16, v3, vcc_lo
	v_and_b32_e32 v16, 0xffff, v14
	v_cmp_eq_u32_e32 vcc_lo, 0, v13
	flat_load_b64 v[2:3], v[2:3]
	s_waitcnt vmcnt(0) lgkmcnt(0)
	v_mad_u64_u32 v[14:15], null, 0xa8, v16, v[2:3]
	s_clause 0x1
	flat_load_b64 v[38:39], v[14:15]
	flat_load_b64 v[21:22], v[14:15] offset:104
	v_dual_cndmask_b32 v35, 0, v15 :: v_dual_cndmask_b32 v34, 0, v14
	s_branch .LBB4_26
.LBB4_23:
	s_trap 2
	s_sendmsg_rtn_b32 s0, sendmsg(MSG_RTN_GET_DOORBELL)
	s_mov_b32 ttmp2, m0
	s_waitcnt lgkmcnt(0)
	s_and_b32 s0, s0, 0x3ff
	s_delay_alu instid0(SALU_CYCLE_1) | instskip(NEXT) | instid1(SALU_CYCLE_1)
	s_bitset1_b32 s0, 10
	s_mov_b32 m0, s0
	s_sendmsg sendmsg(MSG_INTERRUPT)
	s_mov_b32 m0, ttmp2
.LBB4_24:                               ; =>This Inner Loop Header: Depth=1
	s_sethalt 5
	s_branch .LBB4_24
.LBB4_25:
	s_delay_alu instid0(VALU_DEP_2)
	v_dual_mov_b32 v34, v36 :: v_dual_mov_b32 v35, v37
                                        ; implicit-def: $vgpr21_vgpr22
                                        ; implicit-def: $vgpr38_vgpr39
.LBB4_26:
	v_subrev_nc_u32_e32 v2, 32, v1
	v_cmp_gt_u32_e64 s0, s1, v13
                                        ; implicit-def: $vgpr48_vgpr49
	s_delay_alu instid0(VALU_DEP_2) | instskip(NEXT) | instid1(VALU_DEP_2)
	v_cmp_le_i32_e32 vcc_lo, v2, v4
	s_and_b32 s18, vcc_lo, s0
	s_delay_alu instid0(SALU_CYCLE_1)
	s_and_saveexec_b32 s0, s18
; %bb.27:
	s_clause 0x1
	flat_load_b64 v[36:37], v[27:28] offset:56
	flat_load_b64 v[48:49], v[27:28] offset:104
; %bb.28:
	s_or_b32 exec_lo, exec_lo, s0
	v_mov_b32_e32 v2, 0
	v_mov_b32_e32 v3, 0
	v_cmp_gt_i32_e64 s0, s1, v4
                                        ; implicit-def: $vgpr52_vgpr53
	s_delay_alu instid0(VALU_DEP_2) | instskip(SKIP_1) | instid1(VALU_DEP_3)
	v_dual_mov_b32 v14, v3 :: v_dual_mov_b32 v13, v2
	v_dual_mov_b32 v51, v3 :: v_dual_mov_b32 v50, v2
	s_and_saveexec_b32 s1, s0
	s_cbranch_execz .LBB4_30
; %bb.29:
	flat_load_b64 v[50:51], v[34:35] offset:56
	s_waitcnt vmcnt(0) lgkmcnt(0)
	flat_load_b64 v[52:53], v[50:51] glc dlc
	s_waitcnt vmcnt(0)
	flat_load_b128 v[13:16], v[34:35] offset:96
.LBB4_30:
	s_or_b32 exec_lo, exec_lo, s1
	v_and_b32_e32 v0, 0xffff, v0
	s_mov_b32 s19, exec_lo
	v_cmpx_ne_u64_e32 0, v[7:8]
	s_cbranch_execz .LBB4_241
; %bb.31:
	v_alignbit_b32 v98, v55, v55, 1
	v_add_co_u32 v3, vcc_lo, v19, v5
	v_add_co_ci_u32_e32 v6, vcc_lo, v20, v6, vcc_lo
	s_delay_alu instid0(VALU_DEP_3) | instskip(SKIP_3) | instid1(VALU_DEP_1)
	v_dual_mov_b32 v66, 0 :: v_dual_and_b32 v99, 0x7fffffff, v98
	s_ashr_i32 s17, s16, 31
	s_ashr_i32 s7, s6, 31
	s_lshl_b64 s[8:9], s[16:17], 2
	v_cvt_f32_u32_e32 v2, v99
	v_sub_nc_u32_e32 v5, 0, v99
	v_add_co_u32 v68, vcc_lo, v23, s8
	v_add_co_ci_u32_e32 v69, vcc_lo, s9, v24, vcc_lo
	s_delay_alu instid0(VALU_DEP_4)
	v_rcp_iflag_f32_e32 v2, v2
	v_add_co_u32 v112, vcc_lo, v3, v17
	v_add_co_ci_u32_e32 v113, vcc_lo, v6, v18, vcc_lo
	s_lshr_b32 s7, s7, 29
	v_dual_mov_b32 v67, 0 :: v_dual_lshlrev_b32 v100, 3, v4
	s_add_i32 s10, s6, s7
	s_waitcnt_depctr 0xfff
	v_dual_mul_f32 v2, 0x4f7ffffe, v2 :: v_dual_and_b32 v19, 31, v31
	v_ashrrev_i32_e32 v114, 31, v100
	v_add_co_u32 v68, vcc_lo, v68, -4
	s_delay_alu instid0(VALU_DEP_3) | instskip(NEXT) | instid1(VALU_DEP_4)
	v_cmp_eq_u32_e64 s6, 0, v19
	v_cvt_u32_f32_e32 v20, v2
	v_ashrrev_i32_e32 v2, 31, v1
	v_add_co_ci_u32_e32 v69, vcc_lo, -1, v69, vcc_lo
	v_add_co_u32 v116, vcc_lo, v11, v100
	s_delay_alu instid0(VALU_DEP_4)
	v_mul_lo_u32 v55, v5, v20
	v_ashrrev_i32_e32 v5, 31, v4
	v_add_co_ci_u32_e32 v117, vcc_lo, v12, v114, vcc_lo
	v_add_co_u32 v118, vcc_lo, v9, v100
	v_add_co_ci_u32_e32 v119, vcc_lo, v10, v114, vcc_lo
	v_mul_hi_u32 v64, v20, v55
	v_dual_mov_b32 v65, 0 :: v_dual_and_b32 v54, 0x1fffff0, v54
	s_ashr_i32 s8, s10, 3
	v_cmp_ne_u64_e64 s1, 0, v[50:51]
	s_and_b32 s20, s8, -16
	s_waitcnt vmcnt(0) lgkmcnt(0)
	v_cmp_ne_u64_e64 s2, 0, v[13:14]
	v_cmp_ne_u64_e64 s5, 0, v[36:37]
	v_add_nc_u32_e32 v3, v20, v64
	v_lshrrev_b32_e32 v64, 27, v2
	v_lshlrev_b64 v[19:20], 4, v[4:5]
	v_lshlrev_b64 v[5:6], 4, v[1:2]
	v_cmp_ne_u32_e64 s3, 32, v1
	v_mad_u64_u32 v[17:18], null, v3, -1, 0
	v_add_nc_u32_e32 v3, v1, v64
	v_add_co_u32 v128, s8, v38, v19
	v_cmp_ne_u32_e64 s4, v0, v1
	v_dual_mov_b32 v103, 1 :: v_dual_lshlrev_b32 v102, 6, v1
	v_mul_lo_u32 v2, v18, v99
	v_add_nc_u32_e32 v17, 1, v18
	v_ashrrev_i32_e32 v130, 5, v3
	v_cmp_gt_i32_e64 s7, 0, v98
	s_ashr_i32 s17, s10, 7
	v_add_co_ci_u32_e64 v129, s8, v39, v20, s8
	s_delay_alu instid0(VALU_DEP_3)
	v_ashrrev_i32_e32 v131, 31, v130
	v_not_b32_e32 v2, v2
	v_mov_b32_e32 v133, 0
	s_cmp_gt_i32 s16, 2
	s_mov_b32 s21, 0
	s_cselect_b32 s22, -1, 0
	v_cmp_ge_u32_e32 vcc_lo, v2, v99
	v_sub_nc_u32_e32 v9, v2, v99
	v_mov_b32_e32 v55, v65
	v_cndmask_b32_e32 v17, v18, v17, vcc_lo
	s_delay_alu instid0(VALU_DEP_3) | instskip(SKIP_2) | instid1(VALU_DEP_4)
	v_cndmask_b32_e32 v2, v2, v9, vcc_lo
	v_add_co_u32 v9, vcc_lo, v116, v25
	v_add_co_ci_u32_e32 v10, vcc_lo, v117, v26, vcc_lo
	v_add_nc_u32_e32 v3, 1, v17
	s_delay_alu instid0(VALU_DEP_4) | instskip(NEXT) | instid1(VALU_DEP_2)
	v_cmp_ge_u32_e32 vcc_lo, v2, v99
	v_dual_cndmask_b32 v132, v17, v3 :: v_dual_lshlrev_b32 v101, 3, v1
	v_mov_b32_e32 v2, v66
	s_delay_alu instid0(VALU_DEP_2)
	v_ashrrev_i32_e32 v115, 31, v101
	v_mov_b32_e32 v3, v67
.LBB4_32:                               ; =>This Loop Header: Depth=1
                                        ;     Child Loop BB4_39 Depth 2
                                        ;     Child Loop BB4_59 Depth 2
                                        ;     Child Loop BB4_75 Depth 2
                                        ;     Child Loop BB4_82 Depth 2
                                        ;     Child Loop BB4_85 Depth 2
                                        ;       Child Loop BB4_92 Depth 3
                                        ;       Child Loop BB4_112 Depth 3
	;; [unrolled: 1-line block ×3, first 2 shown]
                                        ;         Child Loop BB4_138 Depth 4
                                        ;       Child Loop BB4_156 Depth 3
                                        ;       Child Loop BB4_173 Depth 3
                                        ;     Child Loop BB4_178 Depth 2
                                        ;       Child Loop BB4_186 Depth 3
                                        ;     Child Loop BB4_224 Depth 2
	s_waitcnt vmcnt(0) lgkmcnt(0)
	flat_load_b32 v19, v[68:69]
	v_sub_co_u32 v17, vcc_lo, v7, v66
	v_sub_co_ci_u32_e32 v18, vcc_lo, v8, v67, vcc_lo
	s_delay_alu instid0(VALU_DEP_1) | instskip(SKIP_1) | instid1(VALU_DEP_1)
	v_cmp_lt_u64_e32 vcc_lo, v[54:55], v[17:18]
	v_cndmask_b32_e32 v20, v17, v54, vcc_lo
	v_lshl_add_u32 v17, v20, 1, 14
	s_delay_alu instid0(VALU_DEP_1)
	v_and_b32_e32 v135, 0x7fffff0, v17
	s_and_saveexec_b32 s8, s1
	s_cbranch_execz .LBB4_50
; %bb.33:                               ;   in Loop: Header=BB4_32 Depth=1
	v_add_co_u32 v17, vcc_lo, v15, 1
	v_add_co_ci_u32_e32 v18, vcc_lo, 0, v16, vcc_lo
	v_add_co_u32 v70, vcc_lo, v52, 8
	v_add_co_ci_u32_e32 v71, vcc_lo, 0, v53, vcc_lo
	s_mov_b32 s9, exec_lo
	s_delay_alu instid0(VALU_DEP_1)
	v_cmpx_lt_u64_e64 v[70:71], v[17:18]
	s_cbranch_execz .LBB4_47
; %bb.34:                               ;   in Loop: Header=BB4_32 Depth=1
	s_sleep 1
	flat_load_b64 v[52:53], v[50:51] glc
	v_cmp_eq_u32_e32 vcc_lo, 0, v133
	s_and_saveexec_b32 s10, vcc_lo
	s_cbranch_execz .LBB4_46
; %bb.35:                               ;   in Loop: Header=BB4_32 Depth=1
	v_cndmask_b32_e64 v16, 0, 1, vcc_lo
	s_mov_b32 s11, 0
                                        ; implicit-def: $sgpr12
	s_branch .LBB4_39
.LBB4_36:                               ;   in Loop: Header=BB4_39 Depth=2
	s_or_b32 exec_lo, exec_lo, s15
	s_delay_alu instid0(SALU_CYCLE_1)
	s_or_not1_b32 s15, s23, exec_lo
.LBB4_37:                               ;   in Loop: Header=BB4_39 Depth=2
	s_or_b32 exec_lo, exec_lo, s14
	s_xor_b32 s14, s15, -1
	s_and_not1_b32 s12, s12, exec_lo
	s_and_b32 s14, s14, exec_lo
	s_delay_alu instid0(SALU_CYCLE_1)
	s_or_b32 s12, s12, s14
.LBB4_38:                               ;   in Loop: Header=BB4_39 Depth=2
	s_or_b32 exec_lo, exec_lo, s13
	s_delay_alu instid0(SALU_CYCLE_1) | instskip(NEXT) | instid1(SALU_CYCLE_1)
	s_and_b32 s13, exec_lo, s12
	s_or_b32 s11, s13, s11
	s_delay_alu instid0(SALU_CYCLE_1)
	s_and_not1_b32 exec_lo, exec_lo, s11
	s_cbranch_execz .LBB4_45
.LBB4_39:                               ;   Parent Loop BB4_32 Depth=1
                                        ; =>  This Inner Loop Header: Depth=2
	s_waitcnt vmcnt(0) lgkmcnt(0)
	v_add_co_u32 v70, vcc_lo, v52, 8
	v_add_co_ci_u32_e32 v71, vcc_lo, 0, v53, vcc_lo
	v_mov_b32_e32 v133, 0
	s_or_b32 s12, s12, exec_lo
	s_mov_b32 s13, exec_lo
	s_delay_alu instid0(VALU_DEP_2)
	v_cmpx_lt_u64_e64 v[70:71], v[17:18]
	s_cbranch_execz .LBB4_38
; %bb.40:                               ;   in Loop: Header=BB4_39 Depth=2
	s_sleep 1
	flat_load_b64 v[52:53], v[50:51] glc
	v_dual_mov_b32 v133, 0 :: v_dual_add_nc_u32 v16, 1, v16
	s_mov_b32 s15, -1
	s_mov_b32 s14, exec_lo
	s_delay_alu instid0(VALU_DEP_1)
	v_cmpx_eq_u32_e32 0x2710, v16
	s_cbranch_execz .LBB4_37
; %bb.41:                               ;   in Loop: Header=BB4_39 Depth=2
	s_cbranch_execnz .LBB4_259
; %bb.42:                               ;   in Loop: Header=BB4_39 Depth=2
	ds_load_b64 v[70:71], v0
	v_dual_mov_b32 v16, 0 :: v_dual_mov_b32 v133, 0
	s_mov_b32 s23, -1
	s_mov_b32 s15, exec_lo
	s_waitcnt vmcnt(0) lgkmcnt(0)
	s_waitcnt_vscnt null, 0x0
	flat_load_b32 v64, v[70:71] glc
	s_waitcnt vmcnt(0) lgkmcnt(0)
	buffer_gl1_inv
	buffer_gl0_inv
	v_cmpx_ne_u32_e32 0, v64
	s_cbranch_execz .LBB4_36
; %bb.43:                               ;   in Loop: Header=BB4_39 Depth=2
	ds_store_b32 v0, v64
	s_cbranch_execnz .LBB4_284
; %bb.44:                               ;   in Loop: Header=BB4_39 Depth=2
	v_mov_b32_e32 v133, 1
	s_xor_b32 s23, exec_lo, -1
	s_branch .LBB4_36
.LBB4_45:                               ;   in Loop: Header=BB4_32 Depth=1
	s_or_b32 exec_lo, exec_lo, s11
.LBB4_46:                               ;   in Loop: Header=BB4_32 Depth=1
	s_delay_alu instid0(SALU_CYCLE_1)
	s_or_b32 exec_lo, exec_lo, s10
.LBB4_47:                               ;   in Loop: Header=BB4_32 Depth=1
	s_delay_alu instid0(SALU_CYCLE_1)
	s_or_b32 exec_lo, exec_lo, s9
	s_and_saveexec_b32 s9, s2
	s_cbranch_execz .LBB4_49
; %bb.48:                               ;   in Loop: Header=BB4_32 Depth=1
	v_and_b32_e32 v64, 0x7ffffff8, v15
	v_and_b32_e32 v16, 7, v15
	s_delay_alu instid0(VALU_DEP_2) | instskip(NEXT) | instid1(VALU_DEP_2)
	v_cmp_eq_u64_e32 vcc_lo, 0x7ffffff8, v[64:65]
	v_mad_u64_u32 v[70:71], null, v16, 24, v[13:14]
	v_cndmask_b32_e64 v15, v135, s20, vcc_lo
	s_delay_alu instid0(VALU_DEP_1)
	v_ashrrev_i32_e32 v16, 31, v15
	flat_store_b64 v[70:71], v[15:16] offset:8 dlc
	s_waitcnt_vscnt null, 0x0
.LBB4_49:                               ;   in Loop: Header=BB4_32 Depth=1
	s_or_b32 exec_lo, exec_lo, s9
	v_dual_mov_b32 v15, v17 :: v_dual_mov_b32 v16, v18
.LBB4_50:                               ;   in Loop: Header=BB4_32 Depth=1
	s_or_b32 exec_lo, exec_lo, s8
	s_and_saveexec_b32 s8, s3
	s_cbranch_execz .LBB4_72
; %bb.51:                               ;   in Loop: Header=BB4_32 Depth=1
	s_and_saveexec_b32 s9, s4
	s_delay_alu instid0(SALU_CYCLE_1)
	s_xor_b32 s9, exec_lo, s9
	s_cbranch_execz .LBB4_69
; %bb.52:                               ;   in Loop: Header=BB4_32 Depth=1
	s_and_saveexec_b32 s10, s6
	s_cbranch_execz .LBB4_68
; %bb.53:                               ;   in Loop: Header=BB4_32 Depth=1
	s_mov_b32 s12, exec_lo
	s_mov_b32 s11, exec_lo
	v_mbcnt_lo_u32_b32 v17, s12, 0
	s_waitcnt vmcnt(0) lgkmcnt(0)
	s_waitcnt_vscnt null, 0x0
	buffer_gl1_inv
	buffer_gl0_inv
	v_cmpx_eq_u32_e32 0, v17
	s_cbranch_execz .LBB4_55
; %bb.54:                               ;   in Loop: Header=BB4_32 Depth=1
	s_bcnt1_i32_b32 s12, s12
	s_delay_alu instid0(SALU_CYCLE_1)
	v_mov_b32_e32 v64, s12
	ds_add_u64 v0, v[64:65]
	s_cbranch_execnz .LBB4_278
.LBB4_55:                               ;   in Loop: Header=BB4_32 Depth=1
	s_or_b32 exec_lo, exec_lo, s11
	s_cbranch_execnz .LBB4_265
; %bb.56:                               ;   in Loop: Header=BB4_32 Depth=1
	ds_load_b64 v[17:18], v0
	v_add_co_u32 v2, vcc_lo, v2, v130
	v_add_co_ci_u32_e32 v3, vcc_lo, v3, v131, vcc_lo
	s_mov_b32 s11, exec_lo
	s_waitcnt lgkmcnt(0)
	s_delay_alu instid0(VALU_DEP_1)
	v_cmpx_lt_u64_e64 v[17:18], v[2:3]
	s_cbranch_execz .LBB4_67
; %bb.57:                               ;   in Loop: Header=BB4_32 Depth=1
	s_mov_b32 s12, 0
	s_mov_b32 s15, 0
                                        ; implicit-def: $sgpr13
                                        ; implicit-def: $sgpr14
	s_branch .LBB4_59
.LBB4_58:                               ;   in Loop: Header=BB4_59 Depth=2
	s_or_b32 exec_lo, exec_lo, s25
	s_delay_alu instid0(SALU_CYCLE_1) | instskip(NEXT) | instid1(SALU_CYCLE_1)
	s_and_b32 s23, exec_lo, s24
	s_or_b32 s12, s23, s12
	s_and_not1_b32 s13, s13, exec_lo
	s_and_b32 s23, s14, exec_lo
	s_delay_alu instid0(SALU_CYCLE_1)
	s_or_b32 s13, s13, s23
	s_and_not1_b32 exec_lo, exec_lo, s12
	s_cbranch_execz .LBB4_65
.LBB4_59:                               ;   Parent Loop BB4_32 Depth=1
                                        ; =>  This Inner Loop Header: Depth=2
	s_add_i32 s15, s15, 1
                                        ; implicit-def: $sgpr24
	s_delay_alu instid0(SALU_CYCLE_1) | instskip(SKIP_1) | instid1(SALU_CYCLE_1)
	s_cmpk_lg_i32 s15, 0x2710
	s_cselect_b32 s23, -1, 0
	s_and_b32 vcc_lo, exec_lo, s23
	s_cbranch_vccz .LBB4_63
.LBB4_60:                               ;   in Loop: Header=BB4_59 Depth=2
	s_and_not1_b32 s14, s14, exec_lo
	s_and_b32 s25, s24, exec_lo
	s_mov_b32 s24, -1
	s_or_b32 s14, s14, s25
	s_and_saveexec_b32 s25, s23
	s_cbranch_execz .LBB4_58
; %bb.61:                               ;   in Loop: Header=BB4_59 Depth=2
	s_sleep 1
	s_cbranch_execnz .LBB4_292
; %bb.62:                               ;   in Loop: Header=BB4_59 Depth=2
	ds_load_b64 v[17:18], v0
	s_and_not1_b32 s14, s14, exec_lo
	s_waitcnt lgkmcnt(0)
	v_cmp_ge_u64_e32 vcc_lo, v[17:18], v[2:3]
	s_or_not1_b32 s24, vcc_lo, exec_lo
	s_branch .LBB4_58
.LBB4_63:                               ;   in Loop: Header=BB4_59 Depth=2
	s_cbranch_execnz .LBB4_300
; %bb.64:                               ;   in Loop: Header=BB4_59 Depth=2
	ds_load_b64 v[17:18], v0
	s_and_not1_b32 s23, s23, exec_lo
	s_mov_b32 s15, 0
	s_mov_b32 s24, -1
	s_waitcnt lgkmcnt(0)
	flat_load_b32 v17, v[17:18] glc
	s_waitcnt vmcnt(0) lgkmcnt(0)
	buffer_gl1_inv
	buffer_gl0_inv
	v_cmp_eq_u32_e32 vcc_lo, 0, v17
	s_and_b32 s25, vcc_lo, exec_lo
	s_delay_alu instid0(SALU_CYCLE_1)
	s_or_b32 s23, s23, s25
	s_branch .LBB4_60
.LBB4_65:                               ;   in Loop: Header=BB4_32 Depth=1
	s_or_b32 exec_lo, exec_lo, s12
	s_and_saveexec_b32 s12, s13
	s_delay_alu instid0(SALU_CYCLE_1)
	s_xor_b32 s12, exec_lo, s12
	s_cbranch_execz .LBB4_67
; %bb.66:                               ;   in Loop: Header=BB4_32 Depth=1
	ds_store_b32 v0, v103
	s_cbranch_execnz .LBB4_325
.LBB4_67:                               ;   in Loop: Header=BB4_32 Depth=1
	s_or_b32 exec_lo, exec_lo, s11
	;;#ASMSTART
	s_wakeup
	;;#ASMEND
.LBB4_68:                               ;   in Loop: Header=BB4_32 Depth=1
	s_or_b32 exec_lo, exec_lo, s10
.LBB4_69:                               ;   in Loop: Header=BB4_32 Depth=1
	s_and_not1_saveexec_b32 s9, s9
	s_cbranch_execz .LBB4_71
; %bb.70:                               ;   in Loop: Header=BB4_32 Depth=1
	s_waitcnt vmcnt(0) lgkmcnt(0)
	s_waitcnt_vscnt null, 0x0
	buffer_gl1_inv
	buffer_gl0_inv
	s_barrier
.LBB4_71:                               ;   in Loop: Header=BB4_32 Depth=1
	s_or_b32 exec_lo, exec_lo, s9
.LBB4_72:                               ;   in Loop: Header=BB4_32 Depth=1
	s_delay_alu instid0(SALU_CYCLE_1) | instskip(SKIP_2) | instid1(VALU_DEP_2)
	s_or_b32 exec_lo, exec_lo, s8
	v_sub_nc_u32_e32 v134, v20, v100
	v_mov_b32_e32 v70, v4
	v_cmp_lt_i32_e64 s8, 0, v134
	s_delay_alu instid0(VALU_DEP_1)
	s_and_saveexec_b32 s10, s8
	s_cbranch_execz .LBB4_80
; %bb.73:                               ;   in Loop: Header=BB4_32 Depth=1
	v_dual_mov_b32 v70, v21 :: v_dual_and_b32 v17, 7, v21
	s_waitcnt vmcnt(0) lgkmcnt(0)
	v_ashrrev_i32_e32 v20, 31, v19
	v_mad_u64_u32 v[80:81], null, v112, v19, v[9:10]
	s_delay_alu instid0(VALU_DEP_3) | instskip(SKIP_1) | instid1(VALU_DEP_4)
	v_mul_lo_u32 v17, v17, s17
	v_mul_lo_u32 v82, v113, v19
	;; [unrolled: 1-line block ×4, first 2 shown]
	v_add_co_u32 v71, vcc_lo, 0, 0
	v_mov_b32_e32 v64, v134
	s_mov_b32 s11, 0
	v_ashrrev_i32_e32 v18, 31, v17
	v_add3_u32 v81, v82, v81, v84
	v_add_lshl_u32 v86, v9, v83, 3
	s_delay_alu instid0(VALU_DEP_3) | instskip(SKIP_2) | instid1(VALU_DEP_3)
	v_lshlrev_b64 v[19:20], 4, v[17:18]
	v_add_co_ci_u32_e32 v18, vcc_lo, 1, v70, vcc_lo
	v_mov_b32_e32 v70, v4
	v_add_co_u32 v82, vcc_lo, v128, v19
	s_delay_alu instid0(VALU_DEP_4)
	v_add_co_ci_u32_e32 v83, vcc_lo, v129, v20, vcc_lo
	s_set_inst_prefetch_distance 0x1
	s_branch .LBB4_75
	.p2align	6
.LBB4_74:                               ;   in Loop: Header=BB4_75 Depth=2
	s_or_b32 exec_lo, exec_lo, s9
	s_waitcnt vmcnt(0) lgkmcnt(0)
	v_alignbit_b32 v17, v96, v17, v86
	v_alignbit_b32 v19, v87, v96, v86
	v_mov_b32_e32 v20, v18
	v_sub_nc_u32_e32 v64, v64, v101
	v_add_co_u32 v80, vcc_lo, v80, v101
	v_or_b32_e32 v17, v71, v17
	v_or_b32_e32 v19, v71, v19
	v_add_co_ci_u32_e32 v81, vcc_lo, v81, v115, vcc_lo
	v_cmp_gt_i32_e32 vcc_lo, 1, v64
	v_add_nc_u32_e32 v70, v70, v1
	global_store_b128 v[82:83], v[17:20], off
	v_add_co_u32 v82, s9, v82, v5
	v_add_nc_u32_e32 v86, v86, v102
	v_add_co_ci_u32_e64 v83, s9, v83, v6, s9
	s_or_b32 s11, vcc_lo, s11
	s_delay_alu instid0(SALU_CYCLE_1)
	s_and_not1_b32 exec_lo, exec_lo, s11
	s_cbranch_execz .LBB4_79
.LBB4_75:                               ;   Parent Loop BB4_32 Depth=1
                                        ; =>  This Inner Loop Header: Depth=2
	v_dual_mov_b32 v20, v81 :: v_dual_and_b32 v19, -4, v80
	v_min_u32_e32 v84, 8, v64
	v_dual_mov_b32 v96, 0 :: v_dual_and_b32 v85, 3, v80
	v_mov_b32_e32 v87, 0
	flat_load_b32 v17, v[19:20] glc
	v_add_co_u32 v84, s9, v85, v84
	s_delay_alu instid0(VALU_DEP_1) | instskip(SKIP_1) | instid1(VALU_DEP_1)
	v_add_co_ci_u32_e64 v85, null, 0, 0, s9
	s_mov_b32 s9, exec_lo
	v_cmpx_lt_u64_e32 4, v[84:85]
	s_cbranch_execz .LBB4_77
; %bb.76:                               ;   in Loop: Header=BB4_75 Depth=2
	flat_load_b32 v96, v[19:20] offset:4 glc
.LBB4_77:                               ;   in Loop: Header=BB4_75 Depth=2
	s_or_b32 exec_lo, exec_lo, s9
	s_delay_alu instid0(SALU_CYCLE_1)
	s_mov_b32 s9, exec_lo
	v_cmpx_lt_u64_e32 8, v[84:85]
	s_cbranch_execz .LBB4_74
; %bb.78:                               ;   in Loop: Header=BB4_75 Depth=2
	flat_load_b32 v87, v[19:20] offset:8 glc
	s_branch .LBB4_74
.LBB4_79:                               ;   in Loop: Header=BB4_32 Depth=1
	s_set_inst_prefetch_distance 0x2
	s_or_b32 exec_lo, exec_lo, s11
.LBB4_80:                               ;   in Loop: Header=BB4_32 Depth=1
	s_delay_alu instid0(SALU_CYCLE_1) | instskip(SKIP_2) | instid1(VALU_DEP_2)
	s_or_b32 exec_lo, exec_lo, s10
	v_and_b32_e32 v64, 0x7ffffff8, v21
	v_cmp_gt_i32_e64 s9, s17, v70
	v_cmp_eq_u64_e32 vcc_lo, 0x7ffffff8, v[64:65]
	s_delay_alu instid0(VALU_DEP_2) | instskip(NEXT) | instid1(SALU_CYCLE_1)
	s_and_b32 s9, vcc_lo, s9
	s_and_saveexec_b32 s10, s9
	s_cbranch_execz .LBB4_83
; %bb.81:                               ;   in Loop: Header=BB4_32 Depth=1
	v_dual_mov_b32 v64, v21 :: v_dual_and_b32 v17, 7, v21
	v_ashrrev_i32_e32 v71, 31, v70
	s_mov_b32 s11, 0
	s_delay_alu instid0(VALU_DEP_2) | instskip(SKIP_1) | instid1(VALU_DEP_2)
	v_mul_lo_u32 v17, v17, s17
	s_waitcnt vmcnt(0) lgkmcnt(0)
	v_lshlrev_b64 v[19:20], 4, v[70:71]
	s_delay_alu instid0(VALU_DEP_2) | instskip(NEXT) | instid1(VALU_DEP_1)
	v_ashrrev_i32_e32 v18, 31, v17
	v_lshlrev_b64 v[17:18], 4, v[17:18]
	s_delay_alu instid0(VALU_DEP_1) | instskip(NEXT) | instid1(VALU_DEP_2)
	v_add_co_u32 v19, vcc_lo, v19, v17
	v_add_co_ci_u32_e32 v20, vcc_lo, v20, v18, vcc_lo
	v_add_co_u32 v17, vcc_lo, 0, 0
	v_add_co_ci_u32_e32 v18, vcc_lo, 1, v64, vcc_lo
	s_delay_alu instid0(VALU_DEP_4) | instskip(NEXT) | instid1(VALU_DEP_4)
	v_add_co_u32 v80, vcc_lo, v38, v19
	v_add_co_ci_u32_e32 v81, vcc_lo, v39, v20, vcc_lo
.LBB4_82:                               ;   Parent Loop BB4_32 Depth=1
                                        ; =>  This Inner Loop Header: Depth=2
	s_delay_alu instid0(VALU_DEP_4) | instskip(NEXT) | instid1(VALU_DEP_4)
	v_dual_mov_b32 v19, v17 :: v_dual_add_nc_u32 v70, v70, v1
	v_mov_b32_e32 v20, v18
	s_delay_alu instid0(VALU_DEP_2) | instskip(SKIP_2) | instid1(VALU_DEP_1)
	v_cmp_le_i32_e32 vcc_lo, s17, v70
	global_store_b128 v[80:81], v[17:20], off
	v_add_co_u32 v80, s9, v80, v5
	v_add_co_ci_u32_e64 v81, s9, v81, v6, s9
	s_or_b32 s11, vcc_lo, s11
	s_delay_alu instid0(SALU_CYCLE_1)
	s_and_not1_b32 exec_lo, exec_lo, s11
	s_cbranch_execnz .LBB4_82
.LBB4_83:                               ;   in Loop: Header=BB4_32 Depth=1
	s_or_b32 exec_lo, exec_lo, s10
	v_add_co_u32 v144, vcc_lo, v66, v25
	v_add_co_ci_u32_e32 v145, vcc_lo, v67, v26, vcc_lo
	v_add_co_u32 v70, vcc_lo, v21, 1
	v_add_co_ci_u32_e32 v71, vcc_lo, 0, v22, vcc_lo
	s_and_not1_b32 vcc_lo, exec_lo, s22
	s_cbranch_vccnz .LBB4_175
; %bb.84:                               ;   in Loop: Header=BB4_32 Depth=1
	v_add_co_u32 v80, vcc_lo, v116, v144
	v_add_co_ci_u32_e32 v81, vcc_lo, v117, v145, vcc_lo
	v_add_nc_u16 v146, v21, 1
	s_mov_b32 s11, 2
.LBB4_85:                               ;   Parent Loop BB4_32 Depth=1
                                        ; =>  This Loop Header: Depth=2
                                        ;       Child Loop BB4_92 Depth 3
                                        ;       Child Loop BB4_112 Depth 3
	;; [unrolled: 1-line block ×3, first 2 shown]
                                        ;         Child Loop BB4_138 Depth 4
                                        ;       Child Loop BB4_156 Depth 3
                                        ;       Child Loop BB4_173 Depth 3
	s_delay_alu instid0(SALU_CYCLE_1) | instskip(NEXT) | instid1(SALU_CYCLE_1)
	s_sub_i32 s12, s16, s11
	s_ashr_i32 s13, s12, 31
	s_delay_alu instid0(SALU_CYCLE_1) | instskip(NEXT) | instid1(SALU_CYCLE_1)
	s_lshl_b64 s[12:13], s[12:13], 2
	v_add_co_u32 v17, vcc_lo, v23, s12
	v_add_co_ci_u32_e32 v18, vcc_lo, s13, v24, vcc_lo
	s_waitcnt vmcnt(0) lgkmcnt(0)
	flat_load_b32 v19, v[17:18]
	s_and_saveexec_b32 s9, s1
	s_cbranch_execz .LBB4_103
; %bb.86:                               ;   in Loop: Header=BB4_85 Depth=2
	v_add_co_u32 v17, vcc_lo, v15, 1
	v_add_co_ci_u32_e32 v18, vcc_lo, 0, v16, vcc_lo
	v_add_co_u32 v20, vcc_lo, v52, 8
	v_add_co_ci_u32_e32 v21, vcc_lo, 0, v53, vcc_lo
	s_mov_b32 s10, exec_lo
	s_delay_alu instid0(VALU_DEP_1)
	v_cmpx_lt_u64_e64 v[20:21], v[17:18]
	s_cbranch_execz .LBB4_100
; %bb.87:                               ;   in Loop: Header=BB4_85 Depth=2
	s_sleep 1
	flat_load_b64 v[52:53], v[50:51] glc
	v_cmp_eq_u32_e32 vcc_lo, 0, v133
	s_and_saveexec_b32 s12, vcc_lo
	s_cbranch_execz .LBB4_99
; %bb.88:                               ;   in Loop: Header=BB4_85 Depth=2
	v_cndmask_b32_e64 v16, 0, 1, vcc_lo
	s_mov_b32 s13, 0
                                        ; implicit-def: $sgpr14
	s_branch .LBB4_92
.LBB4_89:                               ;   in Loop: Header=BB4_92 Depth=3
	s_or_b32 exec_lo, exec_lo, s24
	s_delay_alu instid0(SALU_CYCLE_1)
	s_or_not1_b32 s24, s25, exec_lo
.LBB4_90:                               ;   in Loop: Header=BB4_92 Depth=3
	s_or_b32 exec_lo, exec_lo, s23
	s_xor_b32 s23, s24, -1
	s_and_not1_b32 s14, s14, exec_lo
	s_and_b32 s23, s23, exec_lo
	s_delay_alu instid0(SALU_CYCLE_1)
	s_or_b32 s14, s14, s23
.LBB4_91:                               ;   in Loop: Header=BB4_92 Depth=3
	s_or_b32 exec_lo, exec_lo, s15
	s_delay_alu instid0(SALU_CYCLE_1) | instskip(NEXT) | instid1(SALU_CYCLE_1)
	s_and_b32 s15, exec_lo, s14
	s_or_b32 s13, s15, s13
	s_delay_alu instid0(SALU_CYCLE_1)
	s_and_not1_b32 exec_lo, exec_lo, s13
	s_cbranch_execz .LBB4_98
.LBB4_92:                               ;   Parent Loop BB4_32 Depth=1
                                        ;     Parent Loop BB4_85 Depth=2
                                        ; =>    This Inner Loop Header: Depth=3
	s_waitcnt vmcnt(0) lgkmcnt(0)
	v_add_co_u32 v20, vcc_lo, v52, 8
	v_add_co_ci_u32_e32 v21, vcc_lo, 0, v53, vcc_lo
	v_mov_b32_e32 v133, 0
	s_or_b32 s14, s14, exec_lo
	s_mov_b32 s15, exec_lo
	s_delay_alu instid0(VALU_DEP_2)
	v_cmpx_lt_u64_e64 v[20:21], v[17:18]
	s_cbranch_execz .LBB4_91
; %bb.93:                               ;   in Loop: Header=BB4_92 Depth=3
	s_sleep 1
	flat_load_b64 v[52:53], v[50:51] glc
	v_dual_mov_b32 v133, 0 :: v_dual_add_nc_u32 v16, 1, v16
	s_mov_b32 s24, -1
	s_mov_b32 s23, exec_lo
	s_delay_alu instid0(VALU_DEP_1)
	v_cmpx_eq_u32_e32 0x2710, v16
	s_cbranch_execz .LBB4_90
; %bb.94:                               ;   in Loop: Header=BB4_92 Depth=3
	s_cbranch_execnz .LBB4_261
; %bb.95:                               ;   in Loop: Header=BB4_92 Depth=3
	ds_load_b64 v[20:21], v0
	v_dual_mov_b32 v16, 0 :: v_dual_mov_b32 v133, 0
	s_mov_b32 s25, -1
	s_mov_b32 s24, exec_lo
	s_waitcnt vmcnt(0) lgkmcnt(0)
	s_waitcnt_vscnt null, 0x0
	flat_load_b32 v20, v[20:21] glc
	s_waitcnt vmcnt(0) lgkmcnt(0)
	buffer_gl1_inv
	buffer_gl0_inv
	v_cmpx_ne_u32_e32 0, v20
	s_cbranch_execz .LBB4_89
; %bb.96:                               ;   in Loop: Header=BB4_92 Depth=3
	ds_store_b32 v0, v20
	s_cbranch_execnz .LBB4_288
; %bb.97:                               ;   in Loop: Header=BB4_92 Depth=3
	v_mov_b32_e32 v133, 1
	s_xor_b32 s25, exec_lo, -1
	s_branch .LBB4_89
.LBB4_98:                               ;   in Loop: Header=BB4_85 Depth=2
	s_or_b32 exec_lo, exec_lo, s13
.LBB4_99:                               ;   in Loop: Header=BB4_85 Depth=2
	s_delay_alu instid0(SALU_CYCLE_1)
	s_or_b32 exec_lo, exec_lo, s12
.LBB4_100:                              ;   in Loop: Header=BB4_85 Depth=2
	s_delay_alu instid0(SALU_CYCLE_1)
	s_or_b32 exec_lo, exec_lo, s10
	s_and_saveexec_b32 s10, s2
	s_cbranch_execz .LBB4_102
; %bb.101:                              ;   in Loop: Header=BB4_85 Depth=2
	v_and_b32_e32 v64, 0x7ffffff8, v15
	v_and_b32_e32 v16, 7, v15
	s_delay_alu instid0(VALU_DEP_2) | instskip(NEXT) | instid1(VALU_DEP_2)
	v_cmp_eq_u64_e32 vcc_lo, 0x7ffffff8, v[64:65]
	v_mad_u64_u32 v[20:21], null, v16, 24, v[13:14]
	v_cndmask_b32_e64 v15, v135, s20, vcc_lo
	s_delay_alu instid0(VALU_DEP_1)
	v_ashrrev_i32_e32 v16, 31, v15
	flat_store_b64 v[20:21], v[15:16] offset:8 dlc
	s_waitcnt_vscnt null, 0x0
.LBB4_102:                              ;   in Loop: Header=BB4_85 Depth=2
	s_or_b32 exec_lo, exec_lo, s10
	v_dual_mov_b32 v15, v17 :: v_dual_mov_b32 v16, v18
.LBB4_103:                              ;   in Loop: Header=BB4_85 Depth=2
	s_or_b32 exec_lo, exec_lo, s9
	s_and_saveexec_b32 s9, s3
	s_cbranch_execz .LBB4_125
; %bb.104:                              ;   in Loop: Header=BB4_85 Depth=2
	s_and_saveexec_b32 s10, s4
	s_delay_alu instid0(SALU_CYCLE_1)
	s_xor_b32 s10, exec_lo, s10
	s_cbranch_execz .LBB4_122
; %bb.105:                              ;   in Loop: Header=BB4_85 Depth=2
	s_and_saveexec_b32 s12, s6
	s_cbranch_execz .LBB4_121
; %bb.106:                              ;   in Loop: Header=BB4_85 Depth=2
	s_mov_b32 s14, exec_lo
	s_mov_b32 s13, exec_lo
	v_mbcnt_lo_u32_b32 v17, s14, 0
	s_waitcnt vmcnt(0) lgkmcnt(0)
	s_waitcnt_vscnt null, 0x0
	buffer_gl1_inv
	buffer_gl0_inv
	v_cmpx_eq_u32_e32 0, v17
	s_cbranch_execz .LBB4_108
; %bb.107:                              ;   in Loop: Header=BB4_85 Depth=2
	s_bcnt1_i32_b32 s14, s14
	s_delay_alu instid0(SALU_CYCLE_1)
	v_mov_b32_e32 v64, s14
	ds_add_u64 v0, v[64:65]
	s_cbranch_execnz .LBB4_286
.LBB4_108:                              ;   in Loop: Header=BB4_85 Depth=2
	s_or_b32 exec_lo, exec_lo, s13
	s_cbranch_execnz .LBB4_280
; %bb.109:                              ;   in Loop: Header=BB4_85 Depth=2
	ds_load_b64 v[17:18], v0
	v_add_co_u32 v2, vcc_lo, v2, v130
	v_add_co_ci_u32_e32 v3, vcc_lo, v3, v131, vcc_lo
	s_mov_b32 s13, exec_lo
	s_waitcnt lgkmcnt(0)
	s_delay_alu instid0(VALU_DEP_1)
	v_cmpx_lt_u64_e64 v[17:18], v[2:3]
	s_cbranch_execz .LBB4_120
; %bb.110:                              ;   in Loop: Header=BB4_85 Depth=2
	s_mov_b32 s14, 0
	s_mov_b32 s24, 0
                                        ; implicit-def: $sgpr15
                                        ; implicit-def: $sgpr23
	s_branch .LBB4_112
.LBB4_111:                              ;   in Loop: Header=BB4_112 Depth=3
	s_or_b32 exec_lo, exec_lo, s27
	s_delay_alu instid0(SALU_CYCLE_1) | instskip(NEXT) | instid1(SALU_CYCLE_1)
	s_and_b32 s25, exec_lo, s26
	s_or_b32 s14, s25, s14
	s_and_not1_b32 s15, s15, exec_lo
	s_and_b32 s25, s23, exec_lo
	s_delay_alu instid0(SALU_CYCLE_1)
	s_or_b32 s15, s15, s25
	s_and_not1_b32 exec_lo, exec_lo, s14
	s_cbranch_execz .LBB4_118
.LBB4_112:                              ;   Parent Loop BB4_32 Depth=1
                                        ;     Parent Loop BB4_85 Depth=2
                                        ; =>    This Inner Loop Header: Depth=3
	s_add_i32 s24, s24, 1
                                        ; implicit-def: $sgpr26
	s_delay_alu instid0(SALU_CYCLE_1) | instskip(SKIP_1) | instid1(SALU_CYCLE_1)
	s_cmpk_lg_i32 s24, 0x2710
	s_cselect_b32 s25, -1, 0
	s_and_b32 vcc_lo, exec_lo, s25
	s_cbranch_vccz .LBB4_116
.LBB4_113:                              ;   in Loop: Header=BB4_112 Depth=3
	s_and_not1_b32 s23, s23, exec_lo
	s_and_b32 s27, s26, exec_lo
	s_mov_b32 s26, -1
	s_or_b32 s23, s23, s27
	s_and_saveexec_b32 s27, s25
	s_cbranch_execz .LBB4_111
; %bb.114:                              ;   in Loop: Header=BB4_112 Depth=3
	s_sleep 1
	s_cbranch_execnz .LBB4_304
; %bb.115:                              ;   in Loop: Header=BB4_112 Depth=3
	ds_load_b64 v[17:18], v0
	s_and_not1_b32 s23, s23, exec_lo
	s_waitcnt lgkmcnt(0)
	v_cmp_ge_u64_e32 vcc_lo, v[17:18], v[2:3]
	s_or_not1_b32 s26, vcc_lo, exec_lo
	s_branch .LBB4_111
.LBB4_116:                              ;   in Loop: Header=BB4_112 Depth=3
	s_cbranch_execnz .LBB4_308
; %bb.117:                              ;   in Loop: Header=BB4_112 Depth=3
	ds_load_b64 v[17:18], v0
	s_and_not1_b32 s25, s25, exec_lo
	s_mov_b32 s24, 0
	s_mov_b32 s26, -1
	s_waitcnt lgkmcnt(0)
	flat_load_b32 v17, v[17:18] glc
	s_waitcnt vmcnt(0) lgkmcnt(0)
	buffer_gl1_inv
	buffer_gl0_inv
	v_cmp_eq_u32_e32 vcc_lo, 0, v17
	s_and_b32 s27, vcc_lo, exec_lo
	s_delay_alu instid0(SALU_CYCLE_1)
	s_or_b32 s25, s25, s27
	s_branch .LBB4_113
.LBB4_118:                              ;   in Loop: Header=BB4_85 Depth=2
	s_or_b32 exec_lo, exec_lo, s14
	s_and_saveexec_b32 s14, s15
	s_delay_alu instid0(SALU_CYCLE_1)
	s_xor_b32 s14, exec_lo, s14
	s_cbranch_execz .LBB4_120
; %bb.119:                              ;   in Loop: Header=BB4_85 Depth=2
	ds_store_b32 v0, v103
	s_cbranch_execnz .LBB4_329
.LBB4_120:                              ;   in Loop: Header=BB4_85 Depth=2
	s_or_b32 exec_lo, exec_lo, s13
	;;#ASMSTART
	s_wakeup
	;;#ASMEND
.LBB4_121:                              ;   in Loop: Header=BB4_85 Depth=2
	s_or_b32 exec_lo, exec_lo, s12
.LBB4_122:                              ;   in Loop: Header=BB4_85 Depth=2
	s_and_not1_saveexec_b32 s10, s10
	s_cbranch_execz .LBB4_124
; %bb.123:                              ;   in Loop: Header=BB4_85 Depth=2
	s_waitcnt vmcnt(0) lgkmcnt(0)
	s_waitcnt_vscnt null, 0x0
	buffer_gl1_inv
	buffer_gl0_inv
	s_barrier
.LBB4_124:                              ;   in Loop: Header=BB4_85 Depth=2
	s_or_b32 exec_lo, exec_lo, s10
.LBB4_125:                              ;   in Loop: Header=BB4_85 Depth=2
	s_delay_alu instid0(SALU_CYCLE_1)
	s_or_b32 exec_lo, exec_lo, s9
	v_mov_b32_e32 v82, v4
	s_and_saveexec_b32 s12, s8
	s_cbranch_execz .LBB4_147
; %bb.126:                              ;   in Loop: Header=BB4_85 Depth=2
	v_dual_mov_b32 v82, v70 :: v_dual_and_b32 v17, 7, v32
	v_and_b32_e32 v18, 7, v70
	s_waitcnt vmcnt(0) lgkmcnt(0)
	v_ashrrev_i32_e32 v21, 31, v19
	v_mad_u64_u32 v[84:85], null, v112, v19, v[80:81]
	v_mul_lo_u32 v17, v17, s17
	v_mul_lo_u32 v20, v18, s17
	;; [unrolled: 1-line block ×4, first 2 shown]
	v_add_nc_u32_e32 v64, 1, v32
	v_mov_b32_e32 v160, v134
	s_mov_b32 s13, 0
	v_ashrrev_i32_e32 v18, 31, v17
	v_ashrrev_i32_e32 v21, 31, v20
	v_add3_u32 v85, v19, v85, v22
	s_delay_alu instid0(VALU_DEP_3) | instskip(NEXT) | instid1(VALU_DEP_3)
	v_lshlrev_b64 v[17:18], 4, v[17:18]
	v_lshlrev_b64 v[19:20], 4, v[20:21]
	s_delay_alu instid0(VALU_DEP_2) | instskip(NEXT) | instid1(VALU_DEP_3)
	v_add_co_u32 v147, vcc_lo, v29, v17
	v_add_co_ci_u32_e32 v148, vcc_lo, v30, v18, vcc_lo
	s_delay_alu instid0(VALU_DEP_3) | instskip(NEXT) | instid1(VALU_DEP_4)
	v_add_co_u32 v149, vcc_lo, v38, v19
	v_add_co_ci_u32_e32 v150, vcc_lo, v39, v20, vcc_lo
	v_add_co_u32 v151, vcc_lo, 0, 0
	v_add_co_ci_u32_e32 v18, vcc_lo, 1, v82, vcc_lo
	v_mov_b32_e32 v82, v4
	s_branch .LBB4_130
.LBB4_127:                              ;   in Loop: Header=BB4_130 Depth=3
	s_or_b32 exec_lo, exec_lo, s15
	s_xor_b32 s9, s23, -1
	s_delay_alu instid0(SALU_CYCLE_1) | instskip(NEXT) | instid1(SALU_CYCLE_1)
	s_and_saveexec_b32 s15, s9
	s_xor_b32 s9, exec_lo, s15
	s_delay_alu instid0(SALU_CYCLE_1) | instskip(NEXT) | instid1(SALU_CYCLE_1)
	s_and_not1_saveexec_b32 s9, s9
	s_or_b32 exec_lo, exec_lo, s9
.LBB4_128:                              ;   in Loop: Header=BB4_130 Depth=3
	s_delay_alu instid0(SALU_CYCLE_1)
	s_or_b32 exec_lo, exec_lo, s10
.LBB4_129:                              ;   in Loop: Header=BB4_130 Depth=3
	s_delay_alu instid0(SALU_CYCLE_1)
	s_or_b32 exec_lo, exec_lo, s14
	v_lshlrev_b32_e32 v20, 3, v84
	v_and_b32_e32 v22, 0xff00ff, v19
	v_and_b32_e32 v19, 0xff00ff00, v19
	;; [unrolled: 1-line block ×4, first 2 shown]
	s_waitcnt vmcnt(0) lgkmcnt(0)
	v_alignbit_b32 v17, v162, v17, v20
	v_alignbit_b32 v20, v161, v162, v20
	v_add_co_u32 v84, vcc_lo, v84, v101
	v_sub_nc_u32_e32 v160, v160, v101
	s_delay_alu instid0(VALU_DEP_4)
	v_and_b32_e32 v96, 0xff00ff, v17
	v_and_b32_e32 v17, 0xff00ff00, v17
	;; [unrolled: 1-line block ×4, first 2 shown]
	v_add_co_ci_u32_e32 v85, vcc_lo, v85, v115, vcc_lo
	v_add_nc_u32_e32 v22, v22, v96
	v_add_nc_u32_e32 v17, v19, v17
	;; [unrolled: 1-line block ×4, first 2 shown]
	v_add_co_u32 v21, vcc_lo, v149, v86
	s_delay_alu instid0(VALU_DEP_4) | instskip(SKIP_1) | instid1(VALU_DEP_4)
	v_perm_b32 v17, v17, v22, 0x7020500
	v_add_co_ci_u32_e32 v22, vcc_lo, v150, v87, vcc_lo
	v_perm_b32 v19, v20, v19, 0x7020500
	v_mov_b32_e32 v20, v18
	v_cmp_gt_i32_e32 vcc_lo, 1, v160
	v_or_b32_e32 v17, v151, v17
	v_add_nc_u32_e32 v82, v82, v1
	v_or_b32_e32 v19, v151, v19
	s_or_b32 s13, vcc_lo, s13
	global_store_b128 v[21:22], v[17:20], off
	s_and_not1_b32 exec_lo, exec_lo, s13
	s_cbranch_execz .LBB4_146
.LBB4_130:                              ;   Parent Loop BB4_32 Depth=1
                                        ;     Parent Loop BB4_85 Depth=2
                                        ; =>    This Loop Header: Depth=3
                                        ;         Child Loop BB4_138 Depth 4
	v_dual_mov_b32 v20, v85 :: v_dual_and_b32 v19, -4, v84
	v_min_u32_e32 v21, 8, v160
	v_dual_mov_b32 v161, 0 :: v_dual_and_b32 v22, 3, v84
	v_mov_b32_e32 v162, 0
	flat_load_b32 v17, v[19:20] glc
	v_add_co_u32 v21, s9, v22, v21
	s_delay_alu instid0(VALU_DEP_1) | instskip(SKIP_1) | instid1(VALU_DEP_1)
	v_add_co_ci_u32_e64 v22, null, 0, 0, s9
	s_mov_b32 s9, exec_lo
	v_cmpx_lt_u64_e32 4, v[21:22]
	s_cbranch_execz .LBB4_132
; %bb.131:                              ;   in Loop: Header=BB4_130 Depth=3
	flat_load_b32 v162, v[19:20] offset:4 glc
.LBB4_132:                              ;   in Loop: Header=BB4_130 Depth=3
	s_or_b32 exec_lo, exec_lo, s9
	s_delay_alu instid0(SALU_CYCLE_1)
	s_mov_b32 s9, exec_lo
	v_cmpx_lt_u64_e32 8, v[21:22]
	s_cbranch_execz .LBB4_134
; %bb.133:                              ;   in Loop: Header=BB4_130 Depth=3
	flat_load_b32 v161, v[19:20] offset:8 glc
.LBB4_134:                              ;   in Loop: Header=BB4_130 Depth=3
	s_or_b32 exec_lo, exec_lo, s9
	v_ashrrev_i32_e32 v83, 31, v82
	s_delay_alu instid0(VALU_DEP_1) | instskip(NEXT) | instid1(VALU_DEP_1)
	v_lshlrev_b64 v[86:87], 4, v[82:83]
	v_add_co_u32 v96, vcc_lo, v147, v86
	s_delay_alu instid0(VALU_DEP_2)
	v_add_co_ci_u32_e32 v97, vcc_lo, v148, v87, vcc_lo
	v_cmp_eq_u32_e32 vcc_lo, 0, v133
	;;#ASMSTART
	global_load_b128 v[19:22], v[96:97], off glc slc dlc
s_waitcnt vmcnt(0)

	;;#ASMEND
	s_and_saveexec_b32 s14, vcc_lo
	s_cbranch_execz .LBB4_129
; %bb.135:                              ;   in Loop: Header=BB4_130 Depth=3
	v_cmp_ne_u32_e64 s9, v64, v20
	v_cmp_ne_u32_e64 s10, v64, v22
	v_mov_b32_e32 v133, 0
	s_delay_alu instid0(VALU_DEP_2) | instskip(NEXT) | instid1(SALU_CYCLE_1)
	s_or_b32 s9, s9, s10
	s_and_saveexec_b32 s10, s9
	s_cbranch_execz .LBB4_128
; %bb.136:                              ;   in Loop: Header=BB4_130 Depth=3
	v_cndmask_b32_e64 v83, 0, 1, vcc_lo
	s_mov_b32 s15, 0
                                        ; implicit-def: $sgpr23
                                        ; implicit-def: $sgpr24
	s_branch .LBB4_138
.LBB4_137:                              ;   in Loop: Header=BB4_138 Depth=4
	s_or_b32 exec_lo, exec_lo, s25
	s_delay_alu instid0(SALU_CYCLE_1) | instskip(NEXT) | instid1(SALU_CYCLE_1)
	s_and_b32 s9, exec_lo, s9
	s_or_b32 s15, s9, s15
	s_and_not1_b32 s9, s23, exec_lo
	s_and_b32 s23, s24, exec_lo
	s_delay_alu instid0(SALU_CYCLE_1)
	s_or_b32 s23, s9, s23
	s_and_not1_b32 exec_lo, exec_lo, s15
	s_cbranch_execz .LBB4_127
.LBB4_138:                              ;   Parent Loop BB4_32 Depth=1
                                        ;     Parent Loop BB4_85 Depth=2
                                        ;       Parent Loop BB4_130 Depth=3
                                        ; =>      This Inner Loop Header: Depth=4
	s_delay_alu instid0(VALU_DEP_1)
	v_add_nc_u32_e32 v83, 1, v83
	v_mov_b32_e32 v133, 0
	s_mov_b32 s9, -1
	s_mov_b32 s26, -1
	s_mov_b32 s25, exec_lo
	;;#ASMSTART
	global_load_b128 v[19:22], v[96:97], off glc slc dlc
s_waitcnt vmcnt(0)

	;;#ASMEND
	v_cmpx_eq_u32_e32 0x2710, v83
	s_cbranch_execz .LBB4_144
; %bb.139:                              ;   in Loop: Header=BB4_138 Depth=4
	s_cbranch_execnz .LBB4_255
; %bb.140:                              ;   in Loop: Header=BB4_138 Depth=4
	ds_load_b64 v[163:164], v0
	v_mov_b32_e32 v83, 0
	v_mov_b32_e32 v133, 0
	s_mov_b32 s27, -1
	s_mov_b32 s26, exec_lo
	s_waitcnt vmcnt(0) lgkmcnt(0)
	s_waitcnt_vscnt null, 0x0
	flat_load_b32 v163, v[163:164] glc
	s_waitcnt vmcnt(0) lgkmcnt(0)
	buffer_gl1_inv
	buffer_gl0_inv
	v_cmpx_ne_u32_e32 0, v163
	s_cbranch_execz .LBB4_143
; %bb.141:                              ;   in Loop: Header=BB4_138 Depth=4
	ds_store_b32 v0, v163
	s_cbranch_execnz .LBB4_263
; %bb.142:                              ;   in Loop: Header=BB4_138 Depth=4
	v_mov_b32_e32 v133, 1
	s_xor_b32 s27, exec_lo, -1
.LBB4_143:                              ;   in Loop: Header=BB4_138 Depth=4
	s_or_b32 exec_lo, exec_lo, s26
	s_delay_alu instid0(SALU_CYCLE_1)
	s_or_not1_b32 s26, s27, exec_lo
.LBB4_144:                              ;   in Loop: Header=BB4_138 Depth=4
	s_or_b32 exec_lo, exec_lo, s25
	s_delay_alu instid0(SALU_CYCLE_1)
	s_or_b32 s24, s24, exec_lo
	s_and_saveexec_b32 s25, s26
	s_cbranch_execz .LBB4_137
; %bb.145:                              ;   in Loop: Header=BB4_138 Depth=4
	v_cmp_eq_u32_e32 vcc_lo, v64, v20
	v_cmp_eq_u32_e64 s9, v64, v22
	s_and_not1_b32 s24, s24, exec_lo
	s_delay_alu instid0(VALU_DEP_1) | instskip(NEXT) | instid1(SALU_CYCLE_1)
	s_and_b32 s9, vcc_lo, s9
	s_or_not1_b32 s9, s9, exec_lo
	s_branch .LBB4_137
.LBB4_146:                              ;   in Loop: Header=BB4_85 Depth=2
	s_or_b32 exec_lo, exec_lo, s13
.LBB4_147:                              ;   in Loop: Header=BB4_85 Depth=2
	s_delay_alu instid0(SALU_CYCLE_1)
	s_or_b32 exec_lo, exec_lo, s12
	s_and_saveexec_b32 s9, s3
	s_cbranch_execz .LBB4_169
; %bb.148:                              ;   in Loop: Header=BB4_85 Depth=2
	s_and_saveexec_b32 s10, s4
	s_delay_alu instid0(SALU_CYCLE_1)
	s_xor_b32 s10, exec_lo, s10
	s_cbranch_execz .LBB4_166
; %bb.149:                              ;   in Loop: Header=BB4_85 Depth=2
	s_and_saveexec_b32 s12, s6
	s_cbranch_execz .LBB4_165
; %bb.150:                              ;   in Loop: Header=BB4_85 Depth=2
	s_mov_b32 s14, exec_lo
	s_mov_b32 s13, exec_lo
	v_mbcnt_lo_u32_b32 v17, s14, 0
	s_waitcnt vmcnt(0) lgkmcnt(0)
	s_waitcnt_vscnt null, 0x0
	buffer_gl1_inv
	buffer_gl0_inv
	v_cmpx_eq_u32_e32 0, v17
	s_cbranch_execz .LBB4_152
; %bb.151:                              ;   in Loop: Header=BB4_85 Depth=2
	s_bcnt1_i32_b32 s14, s14
	s_delay_alu instid0(SALU_CYCLE_1)
	v_mov_b32_e32 v64, s14
	ds_add_u64 v0, v[64:65]
	s_cbranch_execnz .LBB4_298
.LBB4_152:                              ;   in Loop: Header=BB4_85 Depth=2
	s_or_b32 exec_lo, exec_lo, s13
	s_cbranch_execnz .LBB4_290
; %bb.153:                              ;   in Loop: Header=BB4_85 Depth=2
	ds_load_b64 v[17:18], v0
	v_add_co_u32 v2, vcc_lo, v2, v130
	v_add_co_ci_u32_e32 v3, vcc_lo, v3, v131, vcc_lo
	s_mov_b32 s13, exec_lo
	s_waitcnt lgkmcnt(0)
	s_delay_alu instid0(VALU_DEP_1)
	v_cmpx_lt_u64_e64 v[17:18], v[2:3]
	s_cbranch_execz .LBB4_164
; %bb.154:                              ;   in Loop: Header=BB4_85 Depth=2
	s_mov_b32 s14, 0
	s_mov_b32 s24, 0
                                        ; implicit-def: $sgpr15
                                        ; implicit-def: $sgpr23
	s_branch .LBB4_156
.LBB4_155:                              ;   in Loop: Header=BB4_156 Depth=3
	s_or_b32 exec_lo, exec_lo, s27
	s_delay_alu instid0(SALU_CYCLE_1) | instskip(NEXT) | instid1(SALU_CYCLE_1)
	s_and_b32 s25, exec_lo, s26
	s_or_b32 s14, s25, s14
	s_and_not1_b32 s15, s15, exec_lo
	s_and_b32 s25, s23, exec_lo
	s_delay_alu instid0(SALU_CYCLE_1)
	s_or_b32 s15, s15, s25
	s_and_not1_b32 exec_lo, exec_lo, s14
	s_cbranch_execz .LBB4_162
.LBB4_156:                              ;   Parent Loop BB4_32 Depth=1
                                        ;     Parent Loop BB4_85 Depth=2
                                        ; =>    This Inner Loop Header: Depth=3
	s_add_i32 s24, s24, 1
                                        ; implicit-def: $sgpr26
	s_delay_alu instid0(SALU_CYCLE_1) | instskip(SKIP_1) | instid1(SALU_CYCLE_1)
	s_cmpk_lg_i32 s24, 0x2710
	s_cselect_b32 s25, -1, 0
	s_and_b32 vcc_lo, exec_lo, s25
	s_cbranch_vccz .LBB4_160
.LBB4_157:                              ;   in Loop: Header=BB4_156 Depth=3
	s_and_not1_b32 s23, s23, exec_lo
	s_and_b32 s27, s26, exec_lo
	s_mov_b32 s26, -1
	s_or_b32 s23, s23, s27
	s_and_saveexec_b32 s27, s25
	s_cbranch_execz .LBB4_155
; %bb.158:                              ;   in Loop: Header=BB4_156 Depth=3
	s_sleep 1
	s_cbranch_execnz .LBB4_310
; %bb.159:                              ;   in Loop: Header=BB4_156 Depth=3
	ds_load_b64 v[17:18], v0
	s_and_not1_b32 s23, s23, exec_lo
	s_waitcnt lgkmcnt(0)
	v_cmp_ge_u64_e32 vcc_lo, v[17:18], v[2:3]
	s_or_not1_b32 s26, vcc_lo, exec_lo
	s_branch .LBB4_155
.LBB4_160:                              ;   in Loop: Header=BB4_156 Depth=3
	s_cbranch_execnz .LBB4_312
; %bb.161:                              ;   in Loop: Header=BB4_156 Depth=3
	ds_load_b64 v[17:18], v0
	s_and_not1_b32 s25, s25, exec_lo
	s_mov_b32 s24, 0
	s_mov_b32 s26, -1
	s_waitcnt lgkmcnt(0)
	flat_load_b32 v17, v[17:18] glc
	s_waitcnt vmcnt(0) lgkmcnt(0)
	buffer_gl1_inv
	buffer_gl0_inv
	v_cmp_eq_u32_e32 vcc_lo, 0, v17
	s_and_b32 s27, vcc_lo, exec_lo
	s_delay_alu instid0(SALU_CYCLE_1)
	s_or_b32 s25, s25, s27
	s_branch .LBB4_157
.LBB4_162:                              ;   in Loop: Header=BB4_85 Depth=2
	s_or_b32 exec_lo, exec_lo, s14
	s_and_saveexec_b32 s14, s15
	s_delay_alu instid0(SALU_CYCLE_1)
	s_xor_b32 s14, exec_lo, s14
	s_cbranch_execz .LBB4_164
; %bb.163:                              ;   in Loop: Header=BB4_85 Depth=2
	ds_store_b32 v0, v103
	s_cbranch_execnz .LBB4_331
.LBB4_164:                              ;   in Loop: Header=BB4_85 Depth=2
	s_or_b32 exec_lo, exec_lo, s13
	;;#ASMSTART
	s_wakeup
	;;#ASMEND
.LBB4_165:                              ;   in Loop: Header=BB4_85 Depth=2
	s_or_b32 exec_lo, exec_lo, s12
.LBB4_166:                              ;   in Loop: Header=BB4_85 Depth=2
	s_and_not1_saveexec_b32 s10, s10
	s_cbranch_execz .LBB4_168
; %bb.167:                              ;   in Loop: Header=BB4_85 Depth=2
	s_waitcnt vmcnt(0) lgkmcnt(0)
	s_waitcnt_vscnt null, 0x0
	buffer_gl1_inv
	buffer_gl0_inv
	s_barrier
.LBB4_168:                              ;   in Loop: Header=BB4_85 Depth=2
	s_or_b32 exec_lo, exec_lo, s10
.LBB4_169:                              ;   in Loop: Header=BB4_85 Depth=2
	s_delay_alu instid0(SALU_CYCLE_1)
	s_or_b32 exec_lo, exec_lo, s9
	s_and_saveexec_b32 s9, s5
	s_cbranch_execz .LBB4_171
; %bb.170:                              ;   in Loop: Header=BB4_85 Depth=2
	v_add_co_u32 v48, vcc_lo, v48, 1
	v_add_co_ci_u32_e32 v49, vcc_lo, 0, v49, vcc_lo
	s_waitcnt vmcnt(0) lgkmcnt(0)
	s_waitcnt_vscnt null, 0x0
	flat_store_b64 v[36:37], v[48:49]
.LBB4_171:                              ;   in Loop: Header=BB4_85 Depth=2
	s_or_b32 exec_lo, exec_lo, s9
	v_and_b32_e32 v64, 0x7ffffff8, v70
	v_cmp_gt_i32_e64 s9, s17, v82
	s_delay_alu instid0(VALU_DEP_2) | instskip(NEXT) | instid1(VALU_DEP_2)
	v_cmp_eq_u64_e32 vcc_lo, 0x7ffffff8, v[64:65]
	s_and_b32 s9, vcc_lo, s9
	s_delay_alu instid0(SALU_CYCLE_1)
	s_and_saveexec_b32 s10, s9
	s_cbranch_execz .LBB4_174
; %bb.172:                              ;   in Loop: Header=BB4_85 Depth=2
	v_and_b32_e32 v17, 7, v146
	v_ashrrev_i32_e32 v83, 31, v82
	v_mov_b32_e32 v21, v70
	s_mov_b32 s12, 0
	s_delay_alu instid0(VALU_DEP_3) | instskip(SKIP_2) | instid1(VALU_DEP_2)
	v_mul_lo_u32 v17, s17, v17
	s_waitcnt vmcnt(0) lgkmcnt(0)
	v_lshlrev_b64 v[19:20], 4, v[82:83]
	v_ashrrev_i32_e32 v18, 31, v17
	s_delay_alu instid0(VALU_DEP_1) | instskip(NEXT) | instid1(VALU_DEP_1)
	v_lshlrev_b64 v[17:18], 4, v[17:18]
	v_add_co_u32 v19, vcc_lo, v19, v17
	s_delay_alu instid0(VALU_DEP_2) | instskip(SKIP_2) | instid1(VALU_DEP_4)
	v_add_co_ci_u32_e32 v20, vcc_lo, v20, v18, vcc_lo
	v_add_co_u32 v17, vcc_lo, 0, 0
	v_add_co_ci_u32_e32 v18, vcc_lo, 1, v21, vcc_lo
	v_add_co_u32 v21, vcc_lo, v38, v19
	s_delay_alu instid0(VALU_DEP_4)
	v_add_co_ci_u32_e32 v22, vcc_lo, v39, v20, vcc_lo
.LBB4_173:                              ;   Parent Loop BB4_32 Depth=1
                                        ;     Parent Loop BB4_85 Depth=2
                                        ; =>    This Inner Loop Header: Depth=3
	s_delay_alu instid0(VALU_DEP_4) | instskip(NEXT) | instid1(VALU_DEP_4)
	v_dual_mov_b32 v19, v17 :: v_dual_add_nc_u32 v82, v82, v1
	v_mov_b32_e32 v20, v18
	s_delay_alu instid0(VALU_DEP_2) | instskip(SKIP_2) | instid1(VALU_DEP_1)
	v_cmp_le_i32_e32 vcc_lo, s17, v82
	global_store_b128 v[21:22], v[17:20], off
	v_add_co_u32 v21, s9, v21, v5
	v_add_co_ci_u32_e64 v22, s9, v22, v6, s9
	s_or_b32 s12, vcc_lo, s12
	s_delay_alu instid0(SALU_CYCLE_1)
	s_and_not1_b32 exec_lo, exec_lo, s12
	s_cbranch_execnz .LBB4_173
.LBB4_174:                              ;   in Loop: Header=BB4_85 Depth=2
	s_or_b32 exec_lo, exec_lo, s10
	v_add_co_u32 v32, vcc_lo, v32, 1
	v_add_co_ci_u32_e32 v33, vcc_lo, 0, v33, vcc_lo
	v_add_co_u32 v70, vcc_lo, v70, 1
	v_add_co_ci_u32_e32 v71, vcc_lo, 0, v71, vcc_lo
	v_add_nc_u16 v146, v146, 1
	s_add_i32 s11, s11, 1
	s_delay_alu instid0(SALU_CYCLE_1)
	s_cmp_eq_u32 s11, s16
	s_cbranch_scc0 .LBB4_85
.LBB4_175:                              ;   in Loop: Header=BB4_32 Depth=1
	s_delay_alu instid0(VALU_DEP_1)
	v_dual_mov_b32 v21, v70 :: v_dual_mov_b32 v22, v71
	s_and_saveexec_b32 s23, s8
	s_cbranch_execz .LBB4_215
; %bb.176:                              ;   in Loop: Header=BB4_32 Depth=1
	flat_load_b32 v64, v[23:24]
	v_and_b32_e32 v17, 7, v32
	s_waitcnt vmcnt(1) lgkmcnt(1)
	v_add_co_u32 v19, vcc_lo, v11, v144
	v_add_co_ci_u32_e32 v20, vcc_lo, v12, v145, vcc_lo
	s_delay_alu instid0(VALU_DEP_3) | instskip(SKIP_1) | instid1(VALU_DEP_1)
	v_mul_lo_u32 v17, v17, s17
	s_mov_b32 s24, 0
	v_ashrrev_i32_e32 v18, 31, v17
	s_delay_alu instid0(VALU_DEP_1)
	v_lshlrev_b64 v[17:18], 4, v[17:18]
	s_waitcnt vmcnt(0) lgkmcnt(0)
	v_ashrrev_i32_e32 v70, 31, v64
	v_mul_lo_u32 v82, v113, v64
	v_mad_u64_u32 v[80:81], null, v112, v64, v[19:20]
	v_add_nc_u32_e32 v64, 1, v32
	s_delay_alu instid0(VALU_DEP_4)
	v_mul_lo_u32 v19, v112, v70
	v_add_co_u32 v70, vcc_lo, v118, v144
	v_add_co_ci_u32_e32 v71, vcc_lo, v119, v145, vcc_lo
	v_add_co_u32 v83, vcc_lo, v29, v17
	v_add_co_ci_u32_e32 v84, vcc_lo, v30, v18, vcc_lo
	v_add3_u32 v19, v82, v81, v19
	v_add_co_u32 v85, vcc_lo, v80, v100
	v_mov_b32_e32 v80, v4
	s_delay_alu instid0(VALU_DEP_3)
	v_add_co_ci_u32_e32 v86, vcc_lo, v19, v114, vcc_lo
	s_branch .LBB4_178
.LBB4_177:                              ;   in Loop: Header=BB4_178 Depth=2
	v_sub_nc_u32_e32 v134, v134, v101
	v_add_co_u32 v85, vcc_lo, v85, v101
	v_add_co_ci_u32_e32 v86, vcc_lo, v86, v115, vcc_lo
	s_delay_alu instid0(VALU_DEP_3) | instskip(SKIP_1) | instid1(VALU_DEP_1)
	v_cmp_gt_i32_e32 vcc_lo, 1, v134
	v_add_co_u32 v70, s8, v70, v101
	v_add_co_ci_u32_e64 v71, s8, v71, v115, s8
	v_add_nc_u32_e32 v80, v80, v1
	s_or_b32 s24, vcc_lo, s24
	s_delay_alu instid0(SALU_CYCLE_1)
	s_and_not1_b32 exec_lo, exec_lo, s24
	s_cbranch_execz .LBB4_214
.LBB4_178:                              ;   Parent Loop BB4_32 Depth=1
                                        ; =>  This Loop Header: Depth=2
                                        ;       Child Loop BB4_186 Depth 3
	s_delay_alu instid0(VALU_DEP_1)
	v_dual_mov_b32 v18, v86 :: v_dual_and_b32 v17, -4, v85
	v_min_u32_e32 v19, 8, v134
	v_dual_mov_b32 v87, 0 :: v_dual_and_b32 v20, 3, v85
	v_mov_b32_e32 v97, 0
	flat_load_b32 v96, v[17:18] glc
	v_add_co_u32 v19, s8, v20, v19
	s_delay_alu instid0(VALU_DEP_1) | instskip(SKIP_1) | instid1(VALU_DEP_1)
	v_add_co_ci_u32_e64 v20, null, 0, 0, s8
	s_mov_b32 s8, exec_lo
	v_cmpx_lt_u64_e32 4, v[19:20]
	s_cbranch_execz .LBB4_180
; %bb.179:                              ;   in Loop: Header=BB4_178 Depth=2
	flat_load_b32 v97, v[17:18] offset:4 glc
.LBB4_180:                              ;   in Loop: Header=BB4_178 Depth=2
	s_or_b32 exec_lo, exec_lo, s8
	s_delay_alu instid0(SALU_CYCLE_1)
	s_mov_b32 s8, exec_lo
	v_cmpx_lt_u64_e32 8, v[19:20]
	s_cbranch_execz .LBB4_182
; %bb.181:                              ;   in Loop: Header=BB4_178 Depth=2
	flat_load_b32 v87, v[17:18] offset:8 glc
.LBB4_182:                              ;   in Loop: Header=BB4_178 Depth=2
	s_or_b32 exec_lo, exec_lo, s8
	v_ashrrev_i32_e32 v81, 31, v80
	s_delay_alu instid0(VALU_DEP_1) | instskip(NEXT) | instid1(VALU_DEP_1)
	v_lshlrev_b64 v[17:18], 4, v[80:81]
	v_add_co_u32 v81, vcc_lo, v83, v17
	s_delay_alu instid0(VALU_DEP_2)
	v_add_co_ci_u32_e32 v82, vcc_lo, v84, v18, vcc_lo
	v_cmp_eq_u32_e32 vcc_lo, 0, v133
	;;#ASMSTART
	global_load_b128 v[17:20], v[81:82], off glc slc dlc
s_waitcnt vmcnt(0)

	;;#ASMEND
	s_and_saveexec_b32 s10, vcc_lo
	s_cbranch_execz .LBB4_196
; %bb.183:                              ;   in Loop: Header=BB4_178 Depth=2
	v_cmp_ne_u32_e64 s8, v64, v18
	v_cmp_ne_u32_e64 s9, v64, v20
	v_mov_b32_e32 v133, 0
	s_delay_alu instid0(VALU_DEP_2) | instskip(NEXT) | instid1(SALU_CYCLE_1)
	s_or_b32 s8, s8, s9
	s_and_saveexec_b32 s9, s8
	s_cbranch_execz .LBB4_195
; %bb.184:                              ;   in Loop: Header=BB4_178 Depth=2
	v_cndmask_b32_e64 v135, 0, 1, vcc_lo
	s_mov_b32 s11, 0
                                        ; implicit-def: $sgpr12
                                        ; implicit-def: $sgpr13
	s_branch .LBB4_186
.LBB4_185:                              ;   in Loop: Header=BB4_186 Depth=3
	s_or_b32 exec_lo, exec_lo, s14
	s_delay_alu instid0(SALU_CYCLE_1) | instskip(NEXT) | instid1(SALU_CYCLE_1)
	s_and_b32 s8, exec_lo, s8
	s_or_b32 s11, s8, s11
	s_and_not1_b32 s8, s12, exec_lo
	s_and_b32 s12, s13, exec_lo
	s_delay_alu instid0(SALU_CYCLE_1)
	s_or_b32 s12, s8, s12
	s_and_not1_b32 exec_lo, exec_lo, s11
	s_cbranch_execz .LBB4_194
.LBB4_186:                              ;   Parent Loop BB4_32 Depth=1
                                        ;     Parent Loop BB4_178 Depth=2
                                        ; =>    This Inner Loop Header: Depth=3
	s_delay_alu instid0(VALU_DEP_1)
	v_add_nc_u32_e32 v135, 1, v135
	v_mov_b32_e32 v133, 0
	s_mov_b32 s8, -1
	s_mov_b32 s15, -1
	s_mov_b32 s14, exec_lo
	;;#ASMSTART
	global_load_b128 v[17:20], v[81:82], off glc slc dlc
s_waitcnt vmcnt(0)

	;;#ASMEND
	v_cmpx_eq_u32_e32 0x2710, v135
	s_cbranch_execz .LBB4_192
; %bb.187:                              ;   in Loop: Header=BB4_186 Depth=3
	s_cbranch_execnz .LBB4_257
; %bb.188:                              ;   in Loop: Header=BB4_186 Depth=3
	ds_load_b64 v[144:145], v0
	v_mov_b32_e32 v135, 0
	v_mov_b32_e32 v133, 0
	s_mov_b32 s25, -1
	s_mov_b32 s15, exec_lo
	s_waitcnt vmcnt(0) lgkmcnt(0)
	s_waitcnt_vscnt null, 0x0
	flat_load_b32 v144, v[144:145] glc
	s_waitcnt vmcnt(0) lgkmcnt(0)
	buffer_gl1_inv
	buffer_gl0_inv
	v_cmpx_ne_u32_e32 0, v144
	s_cbranch_execz .LBB4_191
; %bb.189:                              ;   in Loop: Header=BB4_186 Depth=3
	ds_store_b32 v0, v144
	s_cbranch_execnz .LBB4_269
; %bb.190:                              ;   in Loop: Header=BB4_186 Depth=3
	v_mov_b32_e32 v133, 1
	s_xor_b32 s25, exec_lo, -1
.LBB4_191:                              ;   in Loop: Header=BB4_186 Depth=3
	s_or_b32 exec_lo, exec_lo, s15
	s_delay_alu instid0(SALU_CYCLE_1)
	s_or_not1_b32 s15, s25, exec_lo
.LBB4_192:                              ;   in Loop: Header=BB4_186 Depth=3
	s_or_b32 exec_lo, exec_lo, s14
	s_delay_alu instid0(SALU_CYCLE_1)
	s_or_b32 s13, s13, exec_lo
	s_and_saveexec_b32 s14, s15
	s_cbranch_execz .LBB4_185
; %bb.193:                              ;   in Loop: Header=BB4_186 Depth=3
	v_cmp_eq_u32_e32 vcc_lo, v64, v18
	v_cmp_eq_u32_e64 s8, v64, v20
	s_and_not1_b32 s13, s13, exec_lo
	s_delay_alu instid0(VALU_DEP_1) | instskip(NEXT) | instid1(SALU_CYCLE_1)
	s_and_b32 s8, vcc_lo, s8
	s_or_not1_b32 s8, s8, exec_lo
	s_branch .LBB4_185
.LBB4_194:                              ;   in Loop: Header=BB4_178 Depth=2
	s_or_b32 exec_lo, exec_lo, s11
	s_xor_b32 s8, s12, -1
	s_delay_alu instid0(SALU_CYCLE_1) | instskip(NEXT) | instid1(SALU_CYCLE_1)
	s_and_saveexec_b32 s11, s8
	s_xor_b32 s8, exec_lo, s11
	s_delay_alu instid0(SALU_CYCLE_1) | instskip(NEXT) | instid1(SALU_CYCLE_1)
	s_and_not1_saveexec_b32 s8, s8
	s_or_b32 exec_lo, exec_lo, s8
.LBB4_195:                              ;   in Loop: Header=BB4_178 Depth=2
	s_delay_alu instid0(SALU_CYCLE_1)
	s_or_b32 exec_lo, exec_lo, s9
.LBB4_196:                              ;   in Loop: Header=BB4_178 Depth=2
	s_delay_alu instid0(SALU_CYCLE_1) | instskip(SKIP_4) | instid1(VALU_DEP_3)
	s_or_b32 exec_lo, exec_lo, s10
	v_lshlrev_b32_e32 v18, 3, v85
	v_and_b32_e32 v81, 0xff00ff, v17
	v_and_b32_e32 v17, 0xff00ff00, v17
	s_waitcnt vmcnt(0) lgkmcnt(0)
	v_alignbit_b32 v20, v97, v96, v18
	v_alignbit_b32 v18, v87, v97, v18
	s_delay_alu instid0(VALU_DEP_2) | instskip(SKIP_1) | instid1(VALU_DEP_3)
	v_and_b32_e32 v82, 0xff00ff, v20
	v_and_b32_e32 v20, 0xff00ff00, v20
	;; [unrolled: 1-line block ×4, first 2 shown]
	s_delay_alu instid0(VALU_DEP_4) | instskip(NEXT) | instid1(VALU_DEP_4)
	v_add_co_u32 v81, null, v81, v82
	v_add_nc_u32_e32 v17, v17, v20
	v_and_b32_e32 v20, 0xff00ff, v19
	v_and_b32_e32 v19, 0xff00ff00, v19
	s_delay_alu instid0(VALU_DEP_4)
	v_bfe_i32 v82, v81, 0, 8
	v_lshrrev_b32_e32 v97, 16, v81
	v_perm_b32 v96, v17, v81, 0x7020500
	v_lshrrev_b32_e32 v144, 8, v17
	v_add_co_u32 v20, null, v20, v87
	v_cmp_gt_i16_e32 vcc_lo, 0, v82
	s_delay_alu instid0(VALU_DEP_4)
	v_and_b32_e32 v135, 0x8000, v96
	v_sub_nc_u16 v82, 0, v81
	v_bfe_i32 v145, v97, 0, 8
	v_add_nc_u32_e32 v18, v19, v18
	s_and_b32 vcc_lo, s7, vcc_lo
	v_cmp_ne_u32_e64 s8, 0, v135
	v_cndmask_b32_e32 v81, v81, v82, vcc_lo
	v_sub_nc_u16 v82, 0, v144
	v_cmp_gt_i16_e64 s9, 0, v145
	v_sub_nc_u16 v135, 0, v97
	s_and_b32 s8, s7, s8
	v_and_b32_e32 v81, 0xff, v81
	v_cndmask_b32_e64 v82, v144, v82, s8
	s_and_b32 s9, s7, s9
	v_and_b32_e32 v19, v98, v96
	v_cndmask_b32_e64 v97, v97, v135, s9
	v_mul_hi_u32 v87, v81, v132
	v_and_b32_e32 v82, 0xff, v82
	v_lshrrev_b32_e32 v17, 24, v17
	v_cmp_lt_i32_e64 s10, -1, v19
	v_and_b32_e32 v96, 0xff, v97
	v_bfe_i32 v146, v20, 0, 8
	v_mul_hi_u32 v97, v82, v132
	v_sub_nc_u16 v144, 0, v17
	v_mul_lo_u32 v135, v99, v87
	v_mul_hi_u32 v147, v96, v132
	v_cmp_gt_i16_e64 s11, 0, v146
	v_perm_b32 v145, v18, v20, 0x7020500
	v_cndmask_b32_e64 v17, v144, v17, s10
	v_lshrrev_b32_e32 v146, 8, v18
	v_mul_lo_u32 v19, v99, v97
	s_and_b32 s11, s7, s11
	v_sub_nc_u32_e32 v81, v81, v135
	v_mul_lo_u32 v144, v99, v147
	v_and_b32_e32 v17, 0xff, v17
	v_sub_nc_u16 v135, 0, v20
	v_lshrrev_b32_e32 v18, 24, v18
	v_cmp_ge_u32_e64 s12, v81, v99
	v_sub_nc_u32_e32 v19, v82, v19
	s_delay_alu instid0(VALU_DEP_4) | instskip(SKIP_1) | instid1(VALU_DEP_4)
	v_cndmask_b32_e64 v82, v20, v135, s11
	v_sub_nc_u32_e32 v96, v96, v144
	v_add_co_ci_u32_e64 v81, s12, 0, v87, s12
	s_delay_alu instid0(VALU_DEP_4)
	v_cmp_ge_u32_e64 s12, v19, v99
	v_mul_hi_u32 v87, v17, v132
	v_lshrrev_b32_e32 v20, 16, v20
	v_and_b32_e32 v82, 0xff, v82
	v_sub_nc_u16 v149, 0, v18
	v_add_co_ci_u32_e64 v19, s12, 0, v97, s12
	v_cmp_ge_u32_e64 s12, v96, v99
	v_and_b32_e32 v97, 0x8000, v145
	v_mul_lo_u32 v144, v99, v87
	v_mul_hi_u32 v148, v82, v132
	v_and_b32_e32 v145, v98, v145
	v_add_co_ci_u32_e64 v96, s12, 0, v147, s12
	v_bfe_i32 v147, v20, 0, 8
	v_cmp_ne_u32_e64 s12, 0, v97
	v_sub_nc_u16 v97, 0, v146
	v_sub_nc_u32_e32 v17, v17, v144
	v_cmp_lt_i32_e64 s14, -1, v145
	v_cmp_gt_i16_e64 s13, 0, v147
	s_and_b32 s12, s7, s12
	v_sub_nc_u16 v147, 0, v20
	v_cndmask_b32_e64 v97, v146, v97, s12
	v_cmp_ge_u32_e64 s15, v17, v99
	s_and_b32 s13, s7, s13
	v_mul_lo_u32 v144, v99, v148
	v_cndmask_b32_e64 v20, v20, v147, s13
	v_and_b32_e32 v97, 0xff, v97
	v_cndmask_b32_e64 v18, v149, v18, s14
	v_sub_nc_u32_e32 v135, 0, v81
	s_delay_alu instid0(VALU_DEP_4) | instskip(SKIP_1) | instid1(VALU_DEP_3)
	v_and_b32_e32 v145, 0xff, v20
	v_add_co_ci_u32_e64 v20, s15, 0, v87, s15
	v_cndmask_b32_e32 v17, v81, v135, vcc_lo
	v_mul_hi_u32 v87, v97, v132
	s_delay_alu instid0(VALU_DEP_4)
	v_mul_hi_u32 v147, v145, v132
	v_and_b32_e32 v146, 0xff, v18
	v_sub_nc_u32_e32 v82, v82, v144
	v_sub_nc_u32_e32 v18, 0, v19
	;; [unrolled: 1-line block ×4, first 2 shown]
	v_mul_hi_u32 v149, v146, v132
	v_mul_lo_u32 v144, v99, v87
	v_mul_lo_u32 v150, v99, v147
	v_cmp_ge_u32_e32 vcc_lo, v82, v99
	v_cndmask_b32_e64 v18, v19, v18, s8
	v_cndmask_b32_e64 v19, v96, v81, s9
	;; [unrolled: 1-line block ×3, first 2 shown]
	v_mul_lo_u32 v151, v99, v149
	v_sub_nc_u32_e32 v81, v97, v144
	v_add_co_ci_u32_e32 v82, vcc_lo, 0, v148, vcc_lo
	v_sub_nc_u32_e32 v97, v145, v150
	s_delay_alu instid0(VALU_DEP_3) | instskip(NEXT) | instid1(VALU_DEP_3)
	v_cmp_ge_u32_e32 vcc_lo, v81, v99
	v_sub_nc_u32_e32 v96, 0, v82
	v_sub_nc_u32_e32 v135, v146, v151
	v_add_co_ci_u32_e32 v87, vcc_lo, 0, v87, vcc_lo
	v_cmp_ge_u32_e32 vcc_lo, v97, v99
	s_delay_alu instid0(VALU_DEP_4) | instskip(NEXT) | instid1(VALU_DEP_3)
	v_cndmask_b32_e64 v81, v82, v96, s11
	v_sub_nc_u32_e32 v82, 0, v87
	v_add_co_ci_u32_e32 v97, vcc_lo, 0, v147, vcc_lo
	v_cmp_ge_u32_e32 vcc_lo, v135, v99
	s_delay_alu instid0(VALU_DEP_3) | instskip(NEXT) | instid1(VALU_DEP_3)
	v_cndmask_b32_e64 v82, v87, v82, s12
	v_sub_nc_u32_e32 v96, 0, v97
	v_add_co_ci_u32_e32 v135, vcc_lo, 0, v149, vcc_lo
	v_cmp_lt_u32_e32 vcc_lo, 7, v134
	s_delay_alu instid0(VALU_DEP_3) | instskip(NEXT) | instid1(VALU_DEP_3)
	v_cndmask_b32_e64 v96, v97, v96, s13
	v_sub_nc_u32_e32 v145, 0, v135
	v_cndmask_b32_e64 v144, 0, 1, vcc_lo
	;;#ASMSTART
	;;#ASMEND
	s_delay_alu instid0(VALU_DEP_1) | instskip(NEXT) | instid1(VALU_DEP_3)
	v_cmp_ne_u32_e64 s8, 0, v144
	v_cndmask_b32_e64 v87, v145, v135, s14
	s_delay_alu instid0(VALU_DEP_2)
	s_cmp_lg_u32 s8, exec_lo
	s_mov_b32 s8, -1
	s_cbranch_scc0 .LBB4_212
; %bb.197:                              ;   in Loop: Header=BB4_178 Depth=2
	s_mov_b32 s9, exec_lo
	flat_store_b8 v[70:71], v17
	v_cmpx_ne_u32_e32 1, v134
	s_cbranch_execz .LBB4_199
; %bb.198:                              ;   in Loop: Header=BB4_178 Depth=2
	flat_store_b8 v[70:71], v18 offset:1
.LBB4_199:                              ;   in Loop: Header=BB4_178 Depth=2
	s_or_b32 exec_lo, exec_lo, s9
	s_delay_alu instid0(SALU_CYCLE_1)
	s_mov_b32 s9, exec_lo
	v_cmpx_lt_u32_e32 2, v134
	s_cbranch_execz .LBB4_201
; %bb.200:                              ;   in Loop: Header=BB4_178 Depth=2
	flat_store_b8 v[70:71], v19 offset:2
.LBB4_201:                              ;   in Loop: Header=BB4_178 Depth=2
	s_or_b32 exec_lo, exec_lo, s9
	s_delay_alu instid0(SALU_CYCLE_1)
	s_mov_b32 s9, exec_lo
	v_cmpx_lt_u32_e32 3, v134
	;; [unrolled: 8-line block ×5, first 2 shown]
	s_cbranch_execz .LBB4_209
; %bb.208:                              ;   in Loop: Header=BB4_178 Depth=2
	flat_store_b8 v[70:71], v96 offset:6
.LBB4_209:                              ;   in Loop: Header=BB4_178 Depth=2
	s_or_b32 exec_lo, exec_lo, s9
	s_and_saveexec_b32 s8, vcc_lo
	s_cbranch_execz .LBB4_211
; %bb.210:                              ;   in Loop: Header=BB4_178 Depth=2
	flat_store_b8 v[70:71], v87 offset:7
.LBB4_211:                              ;   in Loop: Header=BB4_178 Depth=2
	s_or_b32 exec_lo, exec_lo, s8
	s_mov_b32 s8, 0
.LBB4_212:                              ;   in Loop: Header=BB4_178 Depth=2
	s_delay_alu instid0(SALU_CYCLE_1)
	s_and_b32 vcc_lo, exec_lo, s8
	s_cbranch_vccz .LBB4_177
; %bb.213:                              ;   in Loop: Header=BB4_178 Depth=2
	v_perm_b32 v19, v20, v19, 0x6050400
	v_and_b32_e32 v20, 0xff, v96
	v_lshlrev_b32_e32 v82, 8, v82
	v_lshlrev_b32_e32 v18, 8, v18
	;; [unrolled: 1-line block ×3, first 2 shown]
	v_perm_b32 v17, v19, v17, 0x5040c00
	v_lshlrev_b32_e32 v19, 16, v20
	v_perm_b32 v20, v82, v81, 0xc0c0500
	s_delay_alu instid0(VALU_DEP_3) | instskip(NEXT) | instid1(VALU_DEP_2)
	v_and_or_b32 v17, 0xff00, v18, v17
	v_or3_b32 v18, v87, v19, v20
	global_store_b64 v[70:71], v[17:18], off
	s_branch .LBB4_177
.LBB4_214:                              ;   in Loop: Header=BB4_32 Depth=1
	s_or_b32 exec_lo, exec_lo, s24
.LBB4_215:                              ;   in Loop: Header=BB4_32 Depth=1
	s_delay_alu instid0(SALU_CYCLE_1)
	s_or_b32 exec_lo, exec_lo, s23
	s_and_saveexec_b32 s8, s3
	s_cbranch_execz .LBB4_237
; %bb.216:                              ;   in Loop: Header=BB4_32 Depth=1
	s_and_saveexec_b32 s9, s4
	s_delay_alu instid0(SALU_CYCLE_1)
	s_xor_b32 s9, exec_lo, s9
	s_cbranch_execz .LBB4_234
; %bb.217:                              ;   in Loop: Header=BB4_32 Depth=1
	s_and_saveexec_b32 s10, s6
	s_cbranch_execz .LBB4_233
; %bb.218:                              ;   in Loop: Header=BB4_32 Depth=1
	s_mov_b32 s12, exec_lo
	s_mov_b32 s11, exec_lo
	v_mbcnt_lo_u32_b32 v17, s12, 0
	s_waitcnt vmcnt(0) lgkmcnt(0)
	s_waitcnt_vscnt null, 0x0
	buffer_gl1_inv
	buffer_gl0_inv
	v_cmpx_eq_u32_e32 0, v17
	s_cbranch_execz .LBB4_220
; %bb.219:                              ;   in Loop: Header=BB4_32 Depth=1
	s_bcnt1_i32_b32 s12, s12
	s_delay_alu instid0(SALU_CYCLE_1)
	v_mov_b32_e32 v64, s12
	ds_add_u64 v0, v[64:65]
	s_cbranch_execnz .LBB4_306
.LBB4_220:                              ;   in Loop: Header=BB4_32 Depth=1
	s_or_b32 exec_lo, exec_lo, s11
	s_cbranch_execnz .LBB4_294
; %bb.221:                              ;   in Loop: Header=BB4_32 Depth=1
	ds_load_b64 v[17:18], v0
	v_add_co_u32 v2, vcc_lo, v2, v130
	v_add_co_ci_u32_e32 v3, vcc_lo, v3, v131, vcc_lo
	s_mov_b32 s11, exec_lo
	s_waitcnt lgkmcnt(0)
	s_delay_alu instid0(VALU_DEP_1)
	v_cmpx_lt_u64_e64 v[17:18], v[2:3]
	s_cbranch_execz .LBB4_232
; %bb.222:                              ;   in Loop: Header=BB4_32 Depth=1
	s_mov_b32 s12, 0
	s_mov_b32 s15, 0
                                        ; implicit-def: $sgpr13
                                        ; implicit-def: $sgpr14
	s_branch .LBB4_224
.LBB4_223:                              ;   in Loop: Header=BB4_224 Depth=2
	s_or_b32 exec_lo, exec_lo, s25
	s_delay_alu instid0(SALU_CYCLE_1) | instskip(NEXT) | instid1(SALU_CYCLE_1)
	s_and_b32 s23, exec_lo, s24
	s_or_b32 s12, s23, s12
	s_and_not1_b32 s13, s13, exec_lo
	s_and_b32 s23, s14, exec_lo
	s_delay_alu instid0(SALU_CYCLE_1)
	s_or_b32 s13, s13, s23
	s_and_not1_b32 exec_lo, exec_lo, s12
	s_cbranch_execz .LBB4_230
.LBB4_224:                              ;   Parent Loop BB4_32 Depth=1
                                        ; =>  This Inner Loop Header: Depth=2
	s_add_i32 s15, s15, 1
                                        ; implicit-def: $sgpr24
	s_delay_alu instid0(SALU_CYCLE_1) | instskip(SKIP_1) | instid1(SALU_CYCLE_1)
	s_cmpk_lg_i32 s15, 0x2710
	s_cselect_b32 s23, -1, 0
	s_and_b32 vcc_lo, exec_lo, s23
	s_cbranch_vccz .LBB4_228
.LBB4_225:                              ;   in Loop: Header=BB4_224 Depth=2
	s_and_not1_b32 s14, s14, exec_lo
	s_and_b32 s25, s24, exec_lo
	s_mov_b32 s24, -1
	s_or_b32 s14, s14, s25
	s_and_saveexec_b32 s25, s23
	s_cbranch_execz .LBB4_223
; %bb.226:                              ;   in Loop: Header=BB4_224 Depth=2
	s_sleep 1
	s_cbranch_execnz .LBB4_314
; %bb.227:                              ;   in Loop: Header=BB4_224 Depth=2
	ds_load_b64 v[17:18], v0
	s_and_not1_b32 s14, s14, exec_lo
	s_waitcnt lgkmcnt(0)
	v_cmp_ge_u64_e32 vcc_lo, v[17:18], v[2:3]
	s_or_not1_b32 s24, vcc_lo, exec_lo
	s_branch .LBB4_223
.LBB4_228:                              ;   in Loop: Header=BB4_224 Depth=2
	s_cbranch_execnz .LBB4_316
; %bb.229:                              ;   in Loop: Header=BB4_224 Depth=2
	ds_load_b64 v[17:18], v0
	s_and_not1_b32 s23, s23, exec_lo
	s_mov_b32 s15, 0
	s_mov_b32 s24, -1
	s_waitcnt lgkmcnt(0)
	flat_load_b32 v17, v[17:18] glc
	s_waitcnt vmcnt(0) lgkmcnt(0)
	buffer_gl1_inv
	buffer_gl0_inv
	v_cmp_eq_u32_e32 vcc_lo, 0, v17
	s_and_b32 s25, vcc_lo, exec_lo
	s_delay_alu instid0(SALU_CYCLE_1)
	s_or_b32 s23, s23, s25
	s_branch .LBB4_225
.LBB4_230:                              ;   in Loop: Header=BB4_32 Depth=1
	s_or_b32 exec_lo, exec_lo, s12
	s_and_saveexec_b32 s12, s13
	s_delay_alu instid0(SALU_CYCLE_1)
	s_xor_b32 s12, exec_lo, s12
	s_cbranch_execz .LBB4_232
; %bb.231:                              ;   in Loop: Header=BB4_32 Depth=1
	ds_store_b32 v0, v103
	s_cbranch_execnz .LBB4_333
.LBB4_232:                              ;   in Loop: Header=BB4_32 Depth=1
	s_or_b32 exec_lo, exec_lo, s11
	;;#ASMSTART
	s_wakeup
	;;#ASMEND
.LBB4_233:                              ;   in Loop: Header=BB4_32 Depth=1
	s_or_b32 exec_lo, exec_lo, s10
.LBB4_234:                              ;   in Loop: Header=BB4_32 Depth=1
	s_and_not1_saveexec_b32 s9, s9
	s_cbranch_execz .LBB4_236
; %bb.235:                              ;   in Loop: Header=BB4_32 Depth=1
	s_waitcnt vmcnt(0) lgkmcnt(0)
	s_waitcnt_vscnt null, 0x0
	buffer_gl1_inv
	buffer_gl0_inv
	s_barrier
.LBB4_236:                              ;   in Loop: Header=BB4_32 Depth=1
	s_or_b32 exec_lo, exec_lo, s9
.LBB4_237:                              ;   in Loop: Header=BB4_32 Depth=1
	s_delay_alu instid0(SALU_CYCLE_1)
	s_or_b32 exec_lo, exec_lo, s8
	s_and_saveexec_b32 s8, s5
	s_cbranch_execz .LBB4_239
; %bb.238:                              ;   in Loop: Header=BB4_32 Depth=1
	v_add_co_u32 v48, vcc_lo, v48, 1
	v_add_co_ci_u32_e32 v49, vcc_lo, 0, v49, vcc_lo
	s_waitcnt vmcnt(0) lgkmcnt(0)
	s_waitcnt_vscnt null, 0x0
	flat_store_b64 v[36:37], v[48:49]
.LBB4_239:                              ;   in Loop: Header=BB4_32 Depth=1
	s_or_b32 exec_lo, exec_lo, s8
	v_add_co_u32 v66, vcc_lo, v66, v54
	v_add_co_ci_u32_e32 v67, vcc_lo, 0, v67, vcc_lo
	v_add_co_u32 v32, vcc_lo, v32, 1
	v_add_co_ci_u32_e32 v33, vcc_lo, 0, v33, vcc_lo
	s_delay_alu instid0(VALU_DEP_3) | instskip(SKIP_1) | instid1(VALU_DEP_1)
	v_cmp_ge_u64_e32 vcc_lo, v[66:67], v[7:8]
	v_add_co_u32 v9, s8, v9, v54
	v_add_co_ci_u32_e64 v10, s8, 0, v10, s8
	s_or_b32 s21, vcc_lo, s21
	s_delay_alu instid0(SALU_CYCLE_1)
	s_and_not1_b32 exec_lo, exec_lo, s21
	s_cbranch_execnz .LBB4_32
; %bb.240:
	s_or_b32 exec_lo, exec_lo, s21
.LBB4_241:
	s_delay_alu instid0(SALU_CYCLE_1)
	s_or_b32 exec_lo, exec_lo, s19
	s_and_saveexec_b32 s1, s18
	s_cbranch_execz .LBB4_243
; %bb.242:
	s_waitcnt vmcnt(0) lgkmcnt(0)
	flat_store_b64 v[27:28], v[48:49] offset:104
.LBB4_243:
	s_or_b32 exec_lo, exec_lo, s1
	s_and_saveexec_b32 s1, s0
	s_cbranch_execz .LBB4_245
; %bb.244:
	s_waitcnt vmcnt(0) lgkmcnt(0)
	flat_store_b64 v[34:35], v[15:16] offset:104
.LBB4_245:
	s_or_b32 exec_lo, exec_lo, s1
	s_delay_alu instid0(SALU_CYCLE_1)
	s_mov_b32 s0, exec_lo
	v_cmpx_ne_u32_e32 32, v1
	s_cbranch_execz .LBB4_324
; %bb.246:
	s_mov_b32 s1, exec_lo
	v_cmpx_ne_u32_e64 v0, v1
	s_xor_b32 s1, exec_lo, s1
	s_cbranch_execz .LBB4_322
; %bb.247:
	v_and_b32_e32 v0, 31, v31
	s_mov_b32 s2, exec_lo
	s_delay_alu instid0(VALU_DEP_1)
	v_cmpx_eq_u32_e32 0, v0
	s_cbranch_execz .LBB4_321
; %bb.248:
	s_mov_b32 s4, exec_lo
	s_mov_b32 s3, exec_lo
	v_mbcnt_lo_u32_b32 v0, s4, 0
	s_waitcnt vmcnt(0) lgkmcnt(0)
	s_waitcnt_vscnt null, 0x0
	buffer_gl1_inv
	buffer_gl0_inv
	v_cmpx_eq_u32_e32 0, v0
	s_cbranch_execz .LBB4_250
; %bb.249:
	s_bcnt1_i32_b32 s4, s4
	s_delay_alu instid0(SALU_CYCLE_1)
	v_dual_mov_b32 v5, 0 :: v_dual_mov_b32 v4, s4
	ds_add_u64 v0, v[4:5]
	s_cbranch_execnz .LBB4_282
.LBB4_250:
	s_or_b32 exec_lo, exec_lo, s3
	s_cbranch_execnz .LBB4_267
; %bb.251:
	v_ashrrev_i32_e32 v0, 31, v1
	s_mov_b32 s3, exec_lo
	s_delay_alu instid0(VALU_DEP_1) | instskip(NEXT) | instid1(VALU_DEP_1)
	v_lshrrev_b32_e32 v0, 27, v0
	v_add_nc_u32_e32 v0, v1, v0
	ds_load_b64 v[4:5], v0
	v_ashrrev_i32_e32 v0, 5, v0
	s_delay_alu instid0(VALU_DEP_1) | instskip(SKIP_1) | instid1(VALU_DEP_2)
	v_ashrrev_i32_e32 v1, 31, v0
	v_add_co_u32 v0, vcc_lo, v2, v0
	v_add_co_ci_u32_e32 v1, vcc_lo, v3, v1, vcc_lo
	s_waitcnt lgkmcnt(0)
	s_delay_alu instid0(VALU_DEP_1)
	v_cmpx_lt_u64_e64 v[4:5], v[0:1]
	s_cbranch_execz .LBB4_320
; %bb.252:
	s_mov_b32 s4, 0
	s_mov_b32 s7, 0
                                        ; implicit-def: $sgpr5
                                        ; implicit-def: $sgpr6
	s_branch .LBB4_272
.LBB4_253:
	s_trap 2
	s_sendmsg_rtn_b32 s0, sendmsg(MSG_RTN_GET_DOORBELL)
	s_mov_b32 ttmp2, m0
	s_waitcnt lgkmcnt(0)
	s_and_b32 s0, s0, 0x3ff
	s_delay_alu instid0(SALU_CYCLE_1) | instskip(NEXT) | instid1(SALU_CYCLE_1)
	s_bitset1_b32 s0, 10
	s_mov_b32 m0, s0
	s_sendmsg sendmsg(MSG_INTERRUPT)
	s_mov_b32 m0, ttmp2
.LBB4_254:                              ; =>This Inner Loop Header: Depth=1
	s_sethalt 5
	s_branch .LBB4_254
.LBB4_255:
	s_trap 2
	s_sendmsg_rtn_b32 s0, sendmsg(MSG_RTN_GET_DOORBELL)
	s_mov_b32 ttmp2, m0
	s_waitcnt lgkmcnt(0)
	s_and_b32 s0, s0, 0x3ff
	s_delay_alu instid0(SALU_CYCLE_1) | instskip(NEXT) | instid1(SALU_CYCLE_1)
	s_bitset1_b32 s0, 10
	s_mov_b32 m0, s0
	s_sendmsg sendmsg(MSG_INTERRUPT)
	s_mov_b32 m0, ttmp2
.LBB4_256:                              ; =>This Inner Loop Header: Depth=1
	s_sethalt 5
	s_branch .LBB4_256
.LBB4_257:
	s_trap 2
	s_sendmsg_rtn_b32 s0, sendmsg(MSG_RTN_GET_DOORBELL)
	s_mov_b32 ttmp2, m0
	s_waitcnt lgkmcnt(0)
	s_and_b32 s0, s0, 0x3ff
	s_delay_alu instid0(SALU_CYCLE_1) | instskip(NEXT) | instid1(SALU_CYCLE_1)
	s_bitset1_b32 s0, 10
	s_mov_b32 m0, s0
	s_sendmsg sendmsg(MSG_INTERRUPT)
	s_mov_b32 m0, ttmp2
.LBB4_258:                              ; =>This Inner Loop Header: Depth=1
	s_sethalt 5
	s_branch .LBB4_258
.LBB4_259:
	s_trap 2
	s_sendmsg_rtn_b32 s0, sendmsg(MSG_RTN_GET_DOORBELL)
	s_mov_b32 ttmp2, m0
	s_waitcnt lgkmcnt(0)
	s_and_b32 s0, s0, 0x3ff
	s_delay_alu instid0(SALU_CYCLE_1) | instskip(NEXT) | instid1(SALU_CYCLE_1)
	s_bitset1_b32 s0, 10
	s_mov_b32 m0, s0
	s_sendmsg sendmsg(MSG_INTERRUPT)
	s_mov_b32 m0, ttmp2
.LBB4_260:                              ; =>This Inner Loop Header: Depth=1
	s_sethalt 5
	s_branch .LBB4_260
.LBB4_261:
	s_trap 2
	s_sendmsg_rtn_b32 s0, sendmsg(MSG_RTN_GET_DOORBELL)
	s_mov_b32 ttmp2, m0
	s_waitcnt lgkmcnt(0)
	s_and_b32 s0, s0, 0x3ff
	s_delay_alu instid0(SALU_CYCLE_1) | instskip(NEXT) | instid1(SALU_CYCLE_1)
	s_bitset1_b32 s0, 10
	s_mov_b32 m0, s0
	s_sendmsg sendmsg(MSG_INTERRUPT)
	s_mov_b32 m0, ttmp2
.LBB4_262:                              ; =>This Inner Loop Header: Depth=1
	s_sethalt 5
	s_branch .LBB4_262
.LBB4_263:
	s_trap 2
	s_sendmsg_rtn_b32 s0, sendmsg(MSG_RTN_GET_DOORBELL)
	s_mov_b32 ttmp2, m0
	s_waitcnt lgkmcnt(0)
	s_and_b32 s0, s0, 0x3ff
	s_delay_alu instid0(SALU_CYCLE_1) | instskip(NEXT) | instid1(SALU_CYCLE_1)
	s_bitset1_b32 s0, 10
	s_mov_b32 m0, s0
	s_sendmsg sendmsg(MSG_INTERRUPT)
	s_mov_b32 m0, ttmp2
.LBB4_264:                              ; =>This Inner Loop Header: Depth=1
	s_sethalt 5
	s_branch .LBB4_264
.LBB4_265:
	s_trap 2
	s_sendmsg_rtn_b32 s0, sendmsg(MSG_RTN_GET_DOORBELL)
	s_mov_b32 ttmp2, m0
	s_waitcnt lgkmcnt(0)
	s_and_b32 s0, s0, 0x3ff
	s_delay_alu instid0(SALU_CYCLE_1) | instskip(NEXT) | instid1(SALU_CYCLE_1)
	s_bitset1_b32 s0, 10
	s_mov_b32 m0, s0
	s_sendmsg sendmsg(MSG_INTERRUPT)
	s_mov_b32 m0, ttmp2
.LBB4_266:                              ; =>This Inner Loop Header: Depth=1
	s_sethalt 5
	s_branch .LBB4_266
.LBB4_267:
	s_trap 2
	s_sendmsg_rtn_b32 s0, sendmsg(MSG_RTN_GET_DOORBELL)
	s_mov_b32 ttmp2, m0
	s_waitcnt lgkmcnt(0)
	s_and_b32 s0, s0, 0x3ff
	s_delay_alu instid0(SALU_CYCLE_1) | instskip(NEXT) | instid1(SALU_CYCLE_1)
	s_bitset1_b32 s0, 10
	s_mov_b32 m0, s0
	s_sendmsg sendmsg(MSG_INTERRUPT)
	s_mov_b32 m0, ttmp2
.LBB4_268:                              ; =>This Inner Loop Header: Depth=1
	s_sethalt 5
	s_branch .LBB4_268
.LBB4_269:
	s_trap 2
	s_sendmsg_rtn_b32 s0, sendmsg(MSG_RTN_GET_DOORBELL)
	s_mov_b32 ttmp2, m0
	s_waitcnt lgkmcnt(0)
	s_and_b32 s0, s0, 0x3ff
	s_delay_alu instid0(SALU_CYCLE_1) | instskip(NEXT) | instid1(SALU_CYCLE_1)
	s_bitset1_b32 s0, 10
	s_mov_b32 m0, s0
	s_sendmsg sendmsg(MSG_INTERRUPT)
	s_mov_b32 m0, ttmp2
.LBB4_270:                              ; =>This Inner Loop Header: Depth=1
	s_sethalt 5
	s_branch .LBB4_270
.LBB4_271:                              ;   in Loop: Header=BB4_272 Depth=1
	s_or_b32 exec_lo, exec_lo, s10
	s_delay_alu instid0(SALU_CYCLE_1) | instskip(NEXT) | instid1(SALU_CYCLE_1)
	s_and_b32 s8, exec_lo, s9
	s_or_b32 s4, s8, s4
	s_and_not1_b32 s5, s5, exec_lo
	s_and_b32 s8, s6, exec_lo
	s_delay_alu instid0(SALU_CYCLE_1)
	s_or_b32 s5, s5, s8
	s_and_not1_b32 exec_lo, exec_lo, s4
	s_cbranch_execz .LBB4_318
.LBB4_272:                              ; =>This Inner Loop Header: Depth=1
	s_add_i32 s7, s7, 1
                                        ; implicit-def: $sgpr9
	s_delay_alu instid0(SALU_CYCLE_1) | instskip(SKIP_1) | instid1(SALU_CYCLE_1)
	s_cmpk_lg_i32 s7, 0x2710
	s_cselect_b32 s8, -1, 0
	s_and_b32 vcc_lo, exec_lo, s8
	s_cbranch_vccz .LBB4_276
.LBB4_273:                              ;   in Loop: Header=BB4_272 Depth=1
	s_and_not1_b32 s6, s6, exec_lo
	s_and_b32 s10, s9, exec_lo
	s_mov_b32 s9, -1
	s_or_b32 s6, s6, s10
	s_and_saveexec_b32 s10, s8
	s_cbranch_execz .LBB4_271
; %bb.274:                              ;   in Loop: Header=BB4_272 Depth=1
	s_sleep 1
	s_cbranch_execnz .LBB4_296
; %bb.275:                              ;   in Loop: Header=BB4_272 Depth=1
	ds_load_b64 v[2:3], v0
	s_and_not1_b32 s6, s6, exec_lo
	s_waitcnt lgkmcnt(0)
	v_cmp_ge_u64_e32 vcc_lo, v[2:3], v[0:1]
	s_or_not1_b32 s9, vcc_lo, exec_lo
	s_branch .LBB4_271
.LBB4_276:                              ;   in Loop: Header=BB4_272 Depth=1
	s_cbranch_execnz .LBB4_302
; %bb.277:                              ;   in Loop: Header=BB4_272 Depth=1
	ds_load_b64 v[2:3], v0
	s_and_not1_b32 s8, s8, exec_lo
	s_mov_b32 s7, 0
	s_mov_b32 s9, -1
	s_waitcnt lgkmcnt(0)
	flat_load_b32 v2, v[2:3] glc
	s_waitcnt vmcnt(0) lgkmcnt(0)
	buffer_gl1_inv
	buffer_gl0_inv
	v_cmp_eq_u32_e32 vcc_lo, 0, v2
	s_and_b32 s10, vcc_lo, exec_lo
	s_delay_alu instid0(SALU_CYCLE_1)
	s_or_b32 s8, s8, s10
	s_branch .LBB4_273
.LBB4_278:
	s_trap 2
	s_sendmsg_rtn_b32 s0, sendmsg(MSG_RTN_GET_DOORBELL)
	s_mov_b32 ttmp2, m0
	s_waitcnt lgkmcnt(0)
	s_and_b32 s0, s0, 0x3ff
	s_delay_alu instid0(SALU_CYCLE_1) | instskip(NEXT) | instid1(SALU_CYCLE_1)
	s_bitset1_b32 s0, 10
	s_mov_b32 m0, s0
	s_sendmsg sendmsg(MSG_INTERRUPT)
	s_mov_b32 m0, ttmp2
.LBB4_279:                              ; =>This Inner Loop Header: Depth=1
	s_sethalt 5
	s_branch .LBB4_279
.LBB4_280:
	s_trap 2
	s_sendmsg_rtn_b32 s0, sendmsg(MSG_RTN_GET_DOORBELL)
	s_mov_b32 ttmp2, m0
	s_waitcnt lgkmcnt(0)
	s_and_b32 s0, s0, 0x3ff
	s_delay_alu instid0(SALU_CYCLE_1) | instskip(NEXT) | instid1(SALU_CYCLE_1)
	s_bitset1_b32 s0, 10
	s_mov_b32 m0, s0
	s_sendmsg sendmsg(MSG_INTERRUPT)
	s_mov_b32 m0, ttmp2
.LBB4_281:                              ; =>This Inner Loop Header: Depth=1
	s_sethalt 5
	s_branch .LBB4_281
.LBB4_282:
	s_trap 2
	s_sendmsg_rtn_b32 s0, sendmsg(MSG_RTN_GET_DOORBELL)
	s_mov_b32 ttmp2, m0
	s_waitcnt lgkmcnt(0)
	s_and_b32 s0, s0, 0x3ff
	s_delay_alu instid0(SALU_CYCLE_1) | instskip(NEXT) | instid1(SALU_CYCLE_1)
	s_bitset1_b32 s0, 10
	s_mov_b32 m0, s0
	s_sendmsg sendmsg(MSG_INTERRUPT)
	s_mov_b32 m0, ttmp2
.LBB4_283:                              ; =>This Inner Loop Header: Depth=1
	s_sethalt 5
	s_branch .LBB4_283
.LBB4_284:
	s_trap 2
	s_sendmsg_rtn_b32 s0, sendmsg(MSG_RTN_GET_DOORBELL)
	s_mov_b32 ttmp2, m0
	s_waitcnt lgkmcnt(0)
	s_and_b32 s0, s0, 0x3ff
	s_delay_alu instid0(SALU_CYCLE_1) | instskip(NEXT) | instid1(SALU_CYCLE_1)
	s_bitset1_b32 s0, 10
	s_mov_b32 m0, s0
	s_sendmsg sendmsg(MSG_INTERRUPT)
	s_mov_b32 m0, ttmp2
.LBB4_285:                              ; =>This Inner Loop Header: Depth=1
	s_sethalt 5
	s_branch .LBB4_285
.LBB4_286:
	s_trap 2
	s_sendmsg_rtn_b32 s0, sendmsg(MSG_RTN_GET_DOORBELL)
	s_mov_b32 ttmp2, m0
	s_waitcnt lgkmcnt(0)
	s_and_b32 s0, s0, 0x3ff
	s_delay_alu instid0(SALU_CYCLE_1) | instskip(NEXT) | instid1(SALU_CYCLE_1)
	s_bitset1_b32 s0, 10
	s_mov_b32 m0, s0
	s_sendmsg sendmsg(MSG_INTERRUPT)
	s_mov_b32 m0, ttmp2
.LBB4_287:                              ; =>This Inner Loop Header: Depth=1
	s_sethalt 5
	s_branch .LBB4_287
.LBB4_288:
	s_trap 2
	s_sendmsg_rtn_b32 s0, sendmsg(MSG_RTN_GET_DOORBELL)
	s_mov_b32 ttmp2, m0
	s_waitcnt lgkmcnt(0)
	s_and_b32 s0, s0, 0x3ff
	s_delay_alu instid0(SALU_CYCLE_1) | instskip(NEXT) | instid1(SALU_CYCLE_1)
	s_bitset1_b32 s0, 10
	s_mov_b32 m0, s0
	s_sendmsg sendmsg(MSG_INTERRUPT)
	s_mov_b32 m0, ttmp2
.LBB4_289:                              ; =>This Inner Loop Header: Depth=1
	s_sethalt 5
	s_branch .LBB4_289
.LBB4_290:
	s_trap 2
	s_sendmsg_rtn_b32 s0, sendmsg(MSG_RTN_GET_DOORBELL)
	s_mov_b32 ttmp2, m0
	s_waitcnt lgkmcnt(0)
	s_and_b32 s0, s0, 0x3ff
	s_delay_alu instid0(SALU_CYCLE_1) | instskip(NEXT) | instid1(SALU_CYCLE_1)
	s_bitset1_b32 s0, 10
	s_mov_b32 m0, s0
	s_sendmsg sendmsg(MSG_INTERRUPT)
	s_mov_b32 m0, ttmp2
.LBB4_291:                              ; =>This Inner Loop Header: Depth=1
	s_sethalt 5
	s_branch .LBB4_291
.LBB4_292:
	s_trap 2
	s_sendmsg_rtn_b32 s0, sendmsg(MSG_RTN_GET_DOORBELL)
	s_mov_b32 ttmp2, m0
	s_waitcnt lgkmcnt(0)
	s_and_b32 s0, s0, 0x3ff
	s_delay_alu instid0(SALU_CYCLE_1) | instskip(NEXT) | instid1(SALU_CYCLE_1)
	s_bitset1_b32 s0, 10
	s_mov_b32 m0, s0
	s_sendmsg sendmsg(MSG_INTERRUPT)
	s_mov_b32 m0, ttmp2
.LBB4_293:                              ; =>This Inner Loop Header: Depth=1
	s_sethalt 5
	s_branch .LBB4_293
.LBB4_294:
	s_trap 2
	s_sendmsg_rtn_b32 s0, sendmsg(MSG_RTN_GET_DOORBELL)
	s_mov_b32 ttmp2, m0
	s_waitcnt lgkmcnt(0)
	s_and_b32 s0, s0, 0x3ff
	s_delay_alu instid0(SALU_CYCLE_1) | instskip(NEXT) | instid1(SALU_CYCLE_1)
	s_bitset1_b32 s0, 10
	s_mov_b32 m0, s0
	s_sendmsg sendmsg(MSG_INTERRUPT)
	s_mov_b32 m0, ttmp2
.LBB4_295:                              ; =>This Inner Loop Header: Depth=1
	s_sethalt 5
	s_branch .LBB4_295
.LBB4_296:
	s_trap 2
	s_sendmsg_rtn_b32 s0, sendmsg(MSG_RTN_GET_DOORBELL)
	s_mov_b32 ttmp2, m0
	s_waitcnt lgkmcnt(0)
	s_and_b32 s0, s0, 0x3ff
	s_delay_alu instid0(SALU_CYCLE_1) | instskip(NEXT) | instid1(SALU_CYCLE_1)
	s_bitset1_b32 s0, 10
	s_mov_b32 m0, s0
	s_sendmsg sendmsg(MSG_INTERRUPT)
	s_mov_b32 m0, ttmp2
.LBB4_297:                              ; =>This Inner Loop Header: Depth=1
	s_sethalt 5
	s_branch .LBB4_297
.LBB4_298:
	s_trap 2
	s_sendmsg_rtn_b32 s0, sendmsg(MSG_RTN_GET_DOORBELL)
	s_mov_b32 ttmp2, m0
	s_waitcnt lgkmcnt(0)
	s_and_b32 s0, s0, 0x3ff
	s_delay_alu instid0(SALU_CYCLE_1) | instskip(NEXT) | instid1(SALU_CYCLE_1)
	s_bitset1_b32 s0, 10
	s_mov_b32 m0, s0
	s_sendmsg sendmsg(MSG_INTERRUPT)
	s_mov_b32 m0, ttmp2
.LBB4_299:                              ; =>This Inner Loop Header: Depth=1
	s_sethalt 5
	s_branch .LBB4_299
.LBB4_300:
	s_trap 2
	s_sendmsg_rtn_b32 s0, sendmsg(MSG_RTN_GET_DOORBELL)
	s_mov_b32 ttmp2, m0
	s_waitcnt lgkmcnt(0)
	s_and_b32 s0, s0, 0x3ff
	s_delay_alu instid0(SALU_CYCLE_1) | instskip(NEXT) | instid1(SALU_CYCLE_1)
	s_bitset1_b32 s0, 10
	s_mov_b32 m0, s0
	s_sendmsg sendmsg(MSG_INTERRUPT)
	s_mov_b32 m0, ttmp2
.LBB4_301:                              ; =>This Inner Loop Header: Depth=1
	s_sethalt 5
	s_branch .LBB4_301
.LBB4_302:
	s_trap 2
	s_sendmsg_rtn_b32 s0, sendmsg(MSG_RTN_GET_DOORBELL)
	s_mov_b32 ttmp2, m0
	s_waitcnt lgkmcnt(0)
	s_and_b32 s0, s0, 0x3ff
	s_delay_alu instid0(SALU_CYCLE_1) | instskip(NEXT) | instid1(SALU_CYCLE_1)
	s_bitset1_b32 s0, 10
	s_mov_b32 m0, s0
	s_sendmsg sendmsg(MSG_INTERRUPT)
	s_mov_b32 m0, ttmp2
.LBB4_303:                              ; =>This Inner Loop Header: Depth=1
	s_sethalt 5
	s_branch .LBB4_303
.LBB4_304:
	s_trap 2
	s_sendmsg_rtn_b32 s0, sendmsg(MSG_RTN_GET_DOORBELL)
	s_mov_b32 ttmp2, m0
	s_waitcnt lgkmcnt(0)
	s_and_b32 s0, s0, 0x3ff
	s_delay_alu instid0(SALU_CYCLE_1) | instskip(NEXT) | instid1(SALU_CYCLE_1)
	s_bitset1_b32 s0, 10
	s_mov_b32 m0, s0
	s_sendmsg sendmsg(MSG_INTERRUPT)
	s_mov_b32 m0, ttmp2
.LBB4_305:                              ; =>This Inner Loop Header: Depth=1
	s_sethalt 5
	s_branch .LBB4_305
.LBB4_306:
	s_trap 2
	s_sendmsg_rtn_b32 s0, sendmsg(MSG_RTN_GET_DOORBELL)
	s_mov_b32 ttmp2, m0
	s_waitcnt lgkmcnt(0)
	s_and_b32 s0, s0, 0x3ff
	s_delay_alu instid0(SALU_CYCLE_1) | instskip(NEXT) | instid1(SALU_CYCLE_1)
	s_bitset1_b32 s0, 10
	s_mov_b32 m0, s0
	s_sendmsg sendmsg(MSG_INTERRUPT)
	s_mov_b32 m0, ttmp2
.LBB4_307:                              ; =>This Inner Loop Header: Depth=1
	s_sethalt 5
	s_branch .LBB4_307
.LBB4_308:
	s_trap 2
	s_sendmsg_rtn_b32 s0, sendmsg(MSG_RTN_GET_DOORBELL)
	s_mov_b32 ttmp2, m0
	s_waitcnt lgkmcnt(0)
	s_and_b32 s0, s0, 0x3ff
	s_delay_alu instid0(SALU_CYCLE_1) | instskip(NEXT) | instid1(SALU_CYCLE_1)
	s_bitset1_b32 s0, 10
	s_mov_b32 m0, s0
	s_sendmsg sendmsg(MSG_INTERRUPT)
	s_mov_b32 m0, ttmp2
.LBB4_309:                              ; =>This Inner Loop Header: Depth=1
	s_sethalt 5
	s_branch .LBB4_309
.LBB4_310:
	s_trap 2
	s_sendmsg_rtn_b32 s0, sendmsg(MSG_RTN_GET_DOORBELL)
	s_mov_b32 ttmp2, m0
	s_waitcnt lgkmcnt(0)
	s_and_b32 s0, s0, 0x3ff
	s_delay_alu instid0(SALU_CYCLE_1) | instskip(NEXT) | instid1(SALU_CYCLE_1)
	s_bitset1_b32 s0, 10
	s_mov_b32 m0, s0
	s_sendmsg sendmsg(MSG_INTERRUPT)
	s_mov_b32 m0, ttmp2
.LBB4_311:                              ; =>This Inner Loop Header: Depth=1
	s_sethalt 5
	s_branch .LBB4_311
.LBB4_312:
	s_trap 2
	s_sendmsg_rtn_b32 s0, sendmsg(MSG_RTN_GET_DOORBELL)
	s_mov_b32 ttmp2, m0
	s_waitcnt lgkmcnt(0)
	s_and_b32 s0, s0, 0x3ff
	s_delay_alu instid0(SALU_CYCLE_1) | instskip(NEXT) | instid1(SALU_CYCLE_1)
	s_bitset1_b32 s0, 10
	s_mov_b32 m0, s0
	s_sendmsg sendmsg(MSG_INTERRUPT)
	s_mov_b32 m0, ttmp2
.LBB4_313:                              ; =>This Inner Loop Header: Depth=1
	s_sethalt 5
	s_branch .LBB4_313
.LBB4_314:
	s_trap 2
	s_sendmsg_rtn_b32 s0, sendmsg(MSG_RTN_GET_DOORBELL)
	s_mov_b32 ttmp2, m0
	s_waitcnt lgkmcnt(0)
	s_and_b32 s0, s0, 0x3ff
	s_delay_alu instid0(SALU_CYCLE_1) | instskip(NEXT) | instid1(SALU_CYCLE_1)
	s_bitset1_b32 s0, 10
	s_mov_b32 m0, s0
	s_sendmsg sendmsg(MSG_INTERRUPT)
	s_mov_b32 m0, ttmp2
.LBB4_315:                              ; =>This Inner Loop Header: Depth=1
	s_sethalt 5
	s_branch .LBB4_315
.LBB4_316:
	s_trap 2
	s_sendmsg_rtn_b32 s0, sendmsg(MSG_RTN_GET_DOORBELL)
	s_mov_b32 ttmp2, m0
	s_waitcnt lgkmcnt(0)
	s_and_b32 s0, s0, 0x3ff
	s_delay_alu instid0(SALU_CYCLE_1) | instskip(NEXT) | instid1(SALU_CYCLE_1)
	s_bitset1_b32 s0, 10
	s_mov_b32 m0, s0
	s_sendmsg sendmsg(MSG_INTERRUPT)
	s_mov_b32 m0, ttmp2
.LBB4_317:                              ; =>This Inner Loop Header: Depth=1
	s_sethalt 5
	s_branch .LBB4_317
.LBB4_318:
	s_or_b32 exec_lo, exec_lo, s4
	s_and_saveexec_b32 s4, s5
	s_delay_alu instid0(SALU_CYCLE_1)
	s_xor_b32 s4, exec_lo, s4
	s_cbranch_execz .LBB4_320
; %bb.319:
	v_mov_b32_e32 v0, 1
	ds_store_b32 v0, v0
	s_cbranch_execnz .LBB4_327
.LBB4_320:
	s_or_b32 exec_lo, exec_lo, s3
	;;#ASMSTART
	s_wakeup
	;;#ASMEND
.LBB4_321:
	s_or_b32 exec_lo, exec_lo, s2
.LBB4_322:
	s_and_not1_saveexec_b32 s1, s1
	s_cbranch_execz .LBB4_324
; %bb.323:
	s_waitcnt vmcnt(0) lgkmcnt(0)
	s_waitcnt_vscnt null, 0x0
	buffer_gl1_inv
	buffer_gl0_inv
	s_barrier
.LBB4_324:
	s_or_b32 exec_lo, exec_lo, s0
	s_waitcnt vmcnt(0) lgkmcnt(0)
	s_setpc_b64 s[30:31]
.LBB4_325:
	s_trap 2
	s_sendmsg_rtn_b32 s0, sendmsg(MSG_RTN_GET_DOORBELL)
	s_mov_b32 ttmp2, m0
	s_waitcnt lgkmcnt(0)
	s_and_b32 s0, s0, 0x3ff
	s_delay_alu instid0(SALU_CYCLE_1) | instskip(NEXT) | instid1(SALU_CYCLE_1)
	s_bitset1_b32 s0, 10
	s_mov_b32 m0, s0
	s_sendmsg sendmsg(MSG_INTERRUPT)
	s_mov_b32 m0, ttmp2
.LBB4_326:                              ; =>This Inner Loop Header: Depth=1
	s_sethalt 5
	s_branch .LBB4_326
.LBB4_327:
	s_trap 2
	s_sendmsg_rtn_b32 s0, sendmsg(MSG_RTN_GET_DOORBELL)
	s_mov_b32 ttmp2, m0
	s_waitcnt lgkmcnt(0)
	s_and_b32 s0, s0, 0x3ff
	s_delay_alu instid0(SALU_CYCLE_1) | instskip(NEXT) | instid1(SALU_CYCLE_1)
	s_bitset1_b32 s0, 10
	s_mov_b32 m0, s0
	s_sendmsg sendmsg(MSG_INTERRUPT)
	s_mov_b32 m0, ttmp2
.LBB4_328:                              ; =>This Inner Loop Header: Depth=1
	s_sethalt 5
	s_branch .LBB4_328
.LBB4_329:
	s_trap 2
	s_sendmsg_rtn_b32 s0, sendmsg(MSG_RTN_GET_DOORBELL)
	s_mov_b32 ttmp2, m0
	s_waitcnt lgkmcnt(0)
	s_and_b32 s0, s0, 0x3ff
	s_delay_alu instid0(SALU_CYCLE_1) | instskip(NEXT) | instid1(SALU_CYCLE_1)
	s_bitset1_b32 s0, 10
	s_mov_b32 m0, s0
	s_sendmsg sendmsg(MSG_INTERRUPT)
	s_mov_b32 m0, ttmp2
.LBB4_330:                              ; =>This Inner Loop Header: Depth=1
	s_sethalt 5
	s_branch .LBB4_330
.LBB4_331:
	s_trap 2
	s_sendmsg_rtn_b32 s0, sendmsg(MSG_RTN_GET_DOORBELL)
	s_mov_b32 ttmp2, m0
	s_waitcnt lgkmcnt(0)
	s_and_b32 s0, s0, 0x3ff
	s_delay_alu instid0(SALU_CYCLE_1) | instskip(NEXT) | instid1(SALU_CYCLE_1)
	s_bitset1_b32 s0, 10
	s_mov_b32 m0, s0
	s_sendmsg sendmsg(MSG_INTERRUPT)
	s_mov_b32 m0, ttmp2
.LBB4_332:                              ; =>This Inner Loop Header: Depth=1
	s_sethalt 5
	s_branch .LBB4_332
.LBB4_333:
	s_trap 2
	s_sendmsg_rtn_b32 s0, sendmsg(MSG_RTN_GET_DOORBELL)
	s_mov_b32 ttmp2, m0
	s_waitcnt lgkmcnt(0)
	s_and_b32 s0, s0, 0x3ff
	s_delay_alu instid0(SALU_CYCLE_1) | instskip(NEXT) | instid1(SALU_CYCLE_1)
	s_bitset1_b32 s0, 10
	s_mov_b32 m0, s0
	s_sendmsg sendmsg(MSG_INTERRUPT)
	s_mov_b32 m0, ttmp2
.LBB4_334:                              ; =>This Inner Loop Header: Depth=1
	s_sethalt 5
	s_branch .LBB4_334
.Lfunc_end4:
	.size	_ZN12_GLOBAL__N_17runRingIh14FuncSumPostDivIhE7ProtoLLLi0ELi4ELi0EEEviiP15ncclDevWorkColl, .Lfunc_end4-_ZN12_GLOBAL__N_17runRingIh14FuncSumPostDivIhE7ProtoLLLi0ELi4ELi0EEEviiP15ncclDevWorkColl
                                        ; -- End function
	.section	.AMDGPU.csdata,"",@progbits
; Function info:
; codeLenInByte = 10928
; NumSgprs: 34
; NumVgprs: 165
; ScratchSize: 0
; MemoryBound: 0
	.text
	.p2align	2                               ; -- Begin function _Z53ncclDevFunc_ReduceScatter_RING_LL_SumPostDiv_u8_0_0_4v
	.type	_Z53ncclDevFunc_ReduceScatter_RING_LL_SumPostDiv_u8_0_0_4v,@function
_Z53ncclDevFunc_ReduceScatter_RING_LL_SumPostDiv_u8_0_0_4v: ; @_Z53ncclDevFunc_ReduceScatter_RING_LL_SumPostDiv_u8_0_0_4v
; %bb.0:
	s_waitcnt vmcnt(0) expcnt(0) lgkmcnt(0)
	s_mov_b32 s0, s33
	s_mov_b32 s33, s32
	s_or_saveexec_b32 s1, -1
	scratch_store_b32 off, v40, s33         ; 4-byte Folded Spill
	s_mov_b32 exec_lo, s1
	v_writelane_b32 v40, s0, 6
	s_add_i32 s32, s32, 16
	v_writelane_b32 v40, s34, 0
	v_writelane_b32 v40, s35, 1
	;; [unrolled: 1-line block ×6, first 2 shown]
	s_cbranch_execnz .LBB5_7
; %bb.1:
	ds_load_b32 v0, v0
	v_and_b32_e32 v165, 0x3ff, v31
	s_mov_b32 s0, exec_lo
	s_waitcnt lgkmcnt(0)
	s_delay_alu instid0(VALU_DEP_1)
	v_cmpx_lt_i32_e64 v165, v0
	s_cbranch_execz .LBB5_9
; %bb.2:
	s_load_b32 s1, s[8:9], 0x0
	v_mov_b32_e32 v1, 0
	s_waitcnt lgkmcnt(0)
	s_cmp_lt_u32 s12, s1
	s_cselect_b32 s1, 12, 18
	s_delay_alu instid0(SALU_CYCLE_1)
	s_add_u32 s2, s8, s1
	s_addc_u32 s3, s9, 0
	s_mov_b32 s1, 0
	global_load_u16 v1, v1, s[2:3]
	s_cbranch_execnz .LBB5_24
; %bb.3:
	ds_load_b32 v2, v0
	v_mov_b32_e32 v3, v165
                                        ; implicit-def: $vgpr4
	s_waitcnt vmcnt(0) lgkmcnt(0)
	v_mul_lo_u32 v2, v2, v1
	s_branch .LBB5_5
	.p2align	6
.LBB5_4:                                ;   in Loop: Header=BB5_5 Depth=1
	s_or_b32 exec_lo, exec_lo, s2
	v_add_nc_u32_e32 v3, v3, v1
	v_add_nc_u32_e32 v4, v4, v2
	s_delay_alu instid0(VALU_DEP_2) | instskip(SKIP_1) | instid1(SALU_CYCLE_1)
	v_cmp_ge_i32_e32 vcc_lo, v3, v0
	s_or_b32 s1, vcc_lo, s1
	s_and_not1_b32 exec_lo, exec_lo, s1
	s_cbranch_execz .LBB5_9
.LBB5_5:                                ; =>This Inner Loop Header: Depth=1
	ds_load_b32 v5, v4
	s_mov_b32 s2, exec_lo
	s_waitcnt lgkmcnt(0)
	v_and_b32_e32 v5, 0x1000000, v5
	s_delay_alu instid0(VALU_DEP_1)
	v_cmpx_ne_u32_e32 0, v5
	s_cbranch_execz .LBB5_4
; %bb.6:                                ;   in Loop: Header=BB5_5 Depth=1
	ds_load_b64 v[5:6], v4 offset:104
	s_waitcnt lgkmcnt(0)
	flat_load_b64 v[5:6], v[5:6]
	s_waitcnt vmcnt(0) lgkmcnt(0)
	ds_store_b64 v4, v[5:6] offset:104
	s_branch .LBB5_4
.LBB5_7:
	s_trap 2
	s_sendmsg_rtn_b32 s0, sendmsg(MSG_RTN_GET_DOORBELL)
	s_mov_b32 ttmp2, m0
	s_waitcnt lgkmcnt(0)
	s_and_b32 s0, s0, 0x3ff
	s_delay_alu instid0(SALU_CYCLE_1) | instskip(NEXT) | instid1(SALU_CYCLE_1)
	s_bitset1_b32 s0, 10
	s_mov_b32 m0, s0
	s_sendmsg sendmsg(MSG_INTERRUPT)
	s_mov_b32 m0, ttmp2
.LBB5_8:                                ; =>This Inner Loop Header: Depth=1
	s_sethalt 5
	s_branch .LBB5_8
.LBB5_9:
	s_or_b32 exec_lo, exec_lo, s0
	s_waitcnt lgkmcnt(0)
	s_waitcnt_vscnt null, 0x0
	s_barrier
	buffer_gl0_inv
	s_cbranch_execnz .LBB5_22
; %bb.10:
	ds_load_b32 v0, v0
	s_waitcnt lgkmcnt(0)
	v_cmp_gt_i32_e32 vcc_lo, 1, v0
	s_cbranch_vccnz .LBB5_21
; %bb.11:
	s_mov_b32 s36, 0
	s_mov_b64 s[34:35], src_shared_base
.LBB5_12:                               ; =>This Inner Loop Header: Depth=1
	s_cbranch_execnz .LBB5_26
; %bb.13:                               ;   in Loop: Header=BB5_12 Depth=1
	ds_load_b32 v0, v0
	s_cmp_eq_u32 s36, 0
	s_cbranch_scc1 .LBB5_17
; %bb.14:                               ;   in Loop: Header=BB5_12 Depth=1
	s_cbranch_execnz .LBB5_30
; %bb.15:                               ;   in Loop: Header=BB5_12 Depth=1
	s_waitcnt lgkmcnt(0)
	ds_load_b32 v1, v0
	s_waitcnt lgkmcnt(0)
	v_xor_b32_e32 v1, v1, v0
	s_delay_alu instid0(VALU_DEP_1) | instskip(NEXT) | instid1(VALU_DEP_1)
	v_and_b32_e32 v1, 0xff0000, v1
	v_cmp_eq_u32_e32 vcc_lo, 0, v1
	s_cbranch_vccnz .LBB5_17
; %bb.16:                               ;   in Loop: Header=BB5_12 Depth=1
	s_waitcnt_vscnt null, 0x0
	s_barrier
	buffer_gl0_inv
	ds_load_b32 v0, v0
.LBB5_17:                               ;   in Loop: Header=BB5_12 Depth=1
	s_waitcnt lgkmcnt(0)
	v_lshrrev_b32_e32 v0, 11, v0
	s_mov_b32 s37, exec_lo
	s_delay_alu instid0(VALU_DEP_1) | instskip(NEXT) | instid1(VALU_DEP_1)
	v_and_b32_e32 v1, 0x1fe0, v0
	v_cmpx_lt_u32_e64 v165, v1
	s_cbranch_execz .LBB5_19
; %bb.18:                               ;   in Loop: Header=BB5_12 Depth=1
	v_dual_mov_b32 v0, v165 :: v_dual_mov_b32 v3, s35
	s_getpc_b64 s[0:1]
	s_add_u32 s0, s0, _ZN12_GLOBAL__N_17runRingIh14FuncSumPostDivIhE7ProtoLLLi0ELi4ELi0EEEviiP15ncclDevWorkColl@rel32@lo+4
	s_addc_u32 s1, s1, _ZN12_GLOBAL__N_17runRingIh14FuncSumPostDivIhE7ProtoLLLi0ELi4ELi0EEEviiP15ncclDevWorkColl@rel32@hi+12
	s_mov_b64 s[28:29], s[8:9]
	s_mov_b32 s34, s12
	s_swappc_b64 s[30:31], s[0:1]
	s_mov_b32 s12, s34
	s_mov_b64 s[8:9], s[28:29]
.LBB5_19:                               ;   in Loop: Header=BB5_12 Depth=1
	s_or_b32 exec_lo, exec_lo, s37
	s_cbranch_execnz .LBB5_28
; %bb.20:                               ;   in Loop: Header=BB5_12 Depth=1
	ds_load_b32 v0, v0
	s_add_i32 s36, s36, 1
	s_waitcnt lgkmcnt(0)
	v_cmp_lt_i32_e32 vcc_lo, s36, v0
	s_cbranch_vccnz .LBB5_12
.LBB5_21:
	v_readlane_b32 s30, v40, 4
	v_readlane_b32 s31, v40, 5
	v_readlane_b32 s37, v40, 3
	v_readlane_b32 s36, v40, 2
	v_readlane_b32 s35, v40, 1
	v_readlane_b32 s34, v40, 0
	v_readlane_b32 s0, v40, 6
	s_or_saveexec_b32 s1, -1
	scratch_load_b32 v40, off, s33          ; 4-byte Folded Reload
	s_mov_b32 exec_lo, s1
	s_add_i32 s32, s32, -16
	s_mov_b32 s33, s0
	s_waitcnt vmcnt(0)
	s_setpc_b64 s[30:31]
.LBB5_22:
	s_trap 2
	s_sendmsg_rtn_b32 s0, sendmsg(MSG_RTN_GET_DOORBELL)
	s_mov_b32 ttmp2, m0
	s_waitcnt lgkmcnt(0)
	s_and_b32 s0, s0, 0x3ff
	s_delay_alu instid0(SALU_CYCLE_1) | instskip(NEXT) | instid1(SALU_CYCLE_1)
	s_bitset1_b32 s0, 10
	s_mov_b32 m0, s0
	s_sendmsg sendmsg(MSG_INTERRUPT)
	s_mov_b32 m0, ttmp2
.LBB5_23:                               ; =>This Inner Loop Header: Depth=1
	s_sethalt 5
	s_branch .LBB5_23
.LBB5_24:
	s_trap 2
	s_sendmsg_rtn_b32 s0, sendmsg(MSG_RTN_GET_DOORBELL)
	s_mov_b32 ttmp2, m0
	s_waitcnt lgkmcnt(0)
	s_and_b32 s0, s0, 0x3ff
	s_delay_alu instid0(SALU_CYCLE_1) | instskip(NEXT) | instid1(SALU_CYCLE_1)
	s_bitset1_b32 s0, 10
	s_mov_b32 m0, s0
	s_sendmsg sendmsg(MSG_INTERRUPT)
	s_mov_b32 m0, ttmp2
.LBB5_25:                               ; =>This Inner Loop Header: Depth=1
	s_sethalt 5
	s_branch .LBB5_25
.LBB5_26:
	s_trap 2
	s_sendmsg_rtn_b32 s0, sendmsg(MSG_RTN_GET_DOORBELL)
	s_mov_b32 ttmp2, m0
	s_waitcnt lgkmcnt(0)
	s_and_b32 s0, s0, 0x3ff
	s_delay_alu instid0(SALU_CYCLE_1) | instskip(NEXT) | instid1(SALU_CYCLE_1)
	s_bitset1_b32 s0, 10
	s_mov_b32 m0, s0
	s_sendmsg sendmsg(MSG_INTERRUPT)
	s_mov_b32 m0, ttmp2
.LBB5_27:                               ; =>This Inner Loop Header: Depth=1
	s_sethalt 5
	s_branch .LBB5_27
.LBB5_28:
	s_trap 2
	s_sendmsg_rtn_b32 s0, sendmsg(MSG_RTN_GET_DOORBELL)
	s_mov_b32 ttmp2, m0
	s_waitcnt lgkmcnt(0)
	s_and_b32 s0, s0, 0x3ff
	s_delay_alu instid0(SALU_CYCLE_1) | instskip(NEXT) | instid1(SALU_CYCLE_1)
	s_bitset1_b32 s0, 10
	s_mov_b32 m0, s0
	s_sendmsg sendmsg(MSG_INTERRUPT)
	s_mov_b32 m0, ttmp2
.LBB5_29:                               ; =>This Inner Loop Header: Depth=1
	s_sethalt 5
	s_branch .LBB5_29
.LBB5_30:
	s_trap 2
	s_sendmsg_rtn_b32 s0, sendmsg(MSG_RTN_GET_DOORBELL)
	s_mov_b32 ttmp2, m0
	s_waitcnt lgkmcnt(0)
	s_and_b32 s0, s0, 0x3ff
	s_delay_alu instid0(SALU_CYCLE_1) | instskip(NEXT) | instid1(SALU_CYCLE_1)
	s_bitset1_b32 s0, 10
	s_mov_b32 m0, s0
	s_sendmsg sendmsg(MSG_INTERRUPT)
	s_mov_b32 m0, ttmp2
.LBB5_31:                               ; =>This Inner Loop Header: Depth=1
	s_sethalt 5
	s_branch .LBB5_31
.Lfunc_end5:
	.size	_Z53ncclDevFunc_ReduceScatter_RING_LL_SumPostDiv_u8_0_0_4v, .Lfunc_end5-_Z53ncclDevFunc_ReduceScatter_RING_LL_SumPostDiv_u8_0_0_4v
                                        ; -- End function
	.section	.AMDGPU.csdata,"",@progbits
; Function info:
; codeLenInByte = 976
; NumSgprs: 40
; NumVgprs: 166
; ScratchSize: 16
; MemoryBound: 0
	.text
	.p2alignl 7, 3214868480
	.fill 96, 4, 3214868480
	.type	__hip_cuid_629de1f20036792c,@object ; @__hip_cuid_629de1f20036792c
	.section	.bss,"aw",@nobits
	.globl	__hip_cuid_629de1f20036792c
__hip_cuid_629de1f20036792c:
	.byte	0                               ; 0x0
	.size	__hip_cuid_629de1f20036792c, 1

	.ident	"AMD clang version 19.0.0git (https://github.com/RadeonOpenCompute/llvm-project roc-6.4.0 25133 c7fe45cf4b819c5991fe208aaa96edf142730f1d)"
	.section	".note.GNU-stack","",@progbits
	.addrsig
	.addrsig_sym _Z53ncclDevFunc_ReduceScatter_RING_LL_SumPostDiv_u8_0_0_1v
	.addrsig_sym _Z53ncclDevFunc_ReduceScatter_RING_LL_SumPostDiv_u8_0_0_2v
	.addrsig_sym _Z53ncclDevFunc_ReduceScatter_RING_LL_SumPostDiv_u8_0_0_4v
	.addrsig_sym ncclShmem
	.addrsig_sym __hip_cuid_629de1f20036792c
	.amdgpu_metadata
---
amdhsa.kernels:  []
amdhsa.target:   amdgcn-amd-amdhsa--gfx1100
amdhsa.version:
  - 1
  - 2
...

	.end_amdgpu_metadata
